;; amdgpu-corpus repo=ROCm/rocFFT kind=compiled arch=gfx1030 opt=O3
	.text
	.amdgcn_target "amdgcn-amd-amdhsa--gfx1030"
	.amdhsa_code_object_version 6
	.protected	fft_rtc_fwd_len663_factors_17_13_3_wgs_51_tpt_51_sp_op_CI_CI_sbrr_dirReg ; -- Begin function fft_rtc_fwd_len663_factors_17_13_3_wgs_51_tpt_51_sp_op_CI_CI_sbrr_dirReg
	.globl	fft_rtc_fwd_len663_factors_17_13_3_wgs_51_tpt_51_sp_op_CI_CI_sbrr_dirReg
	.p2align	8
	.type	fft_rtc_fwd_len663_factors_17_13_3_wgs_51_tpt_51_sp_op_CI_CI_sbrr_dirReg,@function
fft_rtc_fwd_len663_factors_17_13_3_wgs_51_tpt_51_sp_op_CI_CI_sbrr_dirReg: ; @fft_rtc_fwd_len663_factors_17_13_3_wgs_51_tpt_51_sp_op_CI_CI_sbrr_dirReg
; %bb.0:
	s_clause 0x2
	s_load_dwordx4 s[16:19], s[4:5], 0x18
	s_load_dwordx4 s[8:11], s[4:5], 0x0
	;; [unrolled: 1-line block ×3, first 2 shown]
	v_mul_u32_u24_e32 v1, 0x506, v0
	v_mov_b32_e32 v4, 0
	v_mov_b32_e32 v2, 0
	;; [unrolled: 1-line block ×3, first 2 shown]
	s_waitcnt lgkmcnt(0)
	s_load_dwordx2 s[20:21], s[16:17], 0x0
	s_load_dwordx2 s[2:3], s[18:19], 0x0
	v_cmp_lt_u64_e64 s0, s[10:11], 2
	v_add_nc_u32_sdwa v6, s6, v1 dst_sel:DWORD dst_unused:UNUSED_PAD src0_sel:DWORD src1_sel:WORD_1
	v_mov_b32_e32 v7, v4
	s_and_b32 vcc_lo, exec_lo, s0
	s_cbranch_vccnz .LBB0_8
; %bb.1:
	s_load_dwordx2 s[0:1], s[4:5], 0x10
	v_mov_b32_e32 v2, 0
	v_mov_b32_e32 v3, 0
	s_add_u32 s6, s18, 8
	s_addc_u32 s7, s19, 0
	s_add_u32 s22, s16, 8
	s_addc_u32 s23, s17, 0
	v_mov_b32_e32 v29, v3
	v_mov_b32_e32 v28, v2
	s_mov_b64 s[26:27], 1
	s_waitcnt lgkmcnt(0)
	s_add_u32 s24, s0, 8
	s_addc_u32 s25, s1, 0
.LBB0_2:                                ; =>This Inner Loop Header: Depth=1
	s_load_dwordx2 s[28:29], s[24:25], 0x0
                                        ; implicit-def: $vgpr30_vgpr31
	s_mov_b32 s0, exec_lo
	s_waitcnt lgkmcnt(0)
	v_or_b32_e32 v5, s29, v7
	v_cmpx_ne_u64_e32 0, v[4:5]
	s_xor_b32 s1, exec_lo, s0
	s_cbranch_execz .LBB0_4
; %bb.3:                                ;   in Loop: Header=BB0_2 Depth=1
	v_cvt_f32_u32_e32 v1, s28
	v_cvt_f32_u32_e32 v5, s29
	s_sub_u32 s0, 0, s28
	s_subb_u32 s30, 0, s29
	v_fmac_f32_e32 v1, 0x4f800000, v5
	v_rcp_f32_e32 v1, v1
	v_mul_f32_e32 v1, 0x5f7ffffc, v1
	v_mul_f32_e32 v5, 0x2f800000, v1
	v_trunc_f32_e32 v5, v5
	v_fmac_f32_e32 v1, 0xcf800000, v5
	v_cvt_u32_f32_e32 v5, v5
	v_cvt_u32_f32_e32 v1, v1
	v_mul_lo_u32 v8, s0, v5
	v_mul_hi_u32 v9, s0, v1
	v_mul_lo_u32 v10, s30, v1
	v_add_nc_u32_e32 v8, v9, v8
	v_mul_lo_u32 v9, s0, v1
	v_add_nc_u32_e32 v8, v8, v10
	v_mul_hi_u32 v10, v1, v9
	v_mul_lo_u32 v11, v1, v8
	v_mul_hi_u32 v12, v1, v8
	v_mul_hi_u32 v13, v5, v9
	v_mul_lo_u32 v9, v5, v9
	v_mul_hi_u32 v14, v5, v8
	v_mul_lo_u32 v8, v5, v8
	v_add_co_u32 v10, vcc_lo, v10, v11
	v_add_co_ci_u32_e32 v11, vcc_lo, 0, v12, vcc_lo
	v_add_co_u32 v9, vcc_lo, v10, v9
	v_add_co_ci_u32_e32 v9, vcc_lo, v11, v13, vcc_lo
	v_add_co_ci_u32_e32 v10, vcc_lo, 0, v14, vcc_lo
	v_add_co_u32 v8, vcc_lo, v9, v8
	v_add_co_ci_u32_e32 v9, vcc_lo, 0, v10, vcc_lo
	v_add_co_u32 v1, vcc_lo, v1, v8
	v_add_co_ci_u32_e32 v5, vcc_lo, v5, v9, vcc_lo
	v_mul_hi_u32 v8, s0, v1
	v_mul_lo_u32 v10, s30, v1
	v_mul_lo_u32 v9, s0, v5
	v_add_nc_u32_e32 v8, v8, v9
	v_mul_lo_u32 v9, s0, v1
	v_add_nc_u32_e32 v8, v8, v10
	v_mul_hi_u32 v10, v1, v9
	v_mul_lo_u32 v11, v1, v8
	v_mul_hi_u32 v12, v1, v8
	v_mul_hi_u32 v13, v5, v9
	v_mul_lo_u32 v9, v5, v9
	v_mul_hi_u32 v14, v5, v8
	v_mul_lo_u32 v8, v5, v8
	v_add_co_u32 v10, vcc_lo, v10, v11
	v_add_co_ci_u32_e32 v11, vcc_lo, 0, v12, vcc_lo
	v_add_co_u32 v9, vcc_lo, v10, v9
	v_add_co_ci_u32_e32 v9, vcc_lo, v11, v13, vcc_lo
	v_add_co_ci_u32_e32 v10, vcc_lo, 0, v14, vcc_lo
	v_add_co_u32 v8, vcc_lo, v9, v8
	v_add_co_ci_u32_e32 v9, vcc_lo, 0, v10, vcc_lo
	v_add_co_u32 v1, vcc_lo, v1, v8
	v_add_co_ci_u32_e32 v5, vcc_lo, v5, v9, vcc_lo
	v_mul_hi_u32 v14, v6, v1
	v_mad_u64_u32 v[10:11], null, v7, v1, 0
	v_mad_u64_u32 v[8:9], null, v6, v5, 0
	v_mad_u64_u32 v[12:13], null, v7, v5, 0
	v_add_co_u32 v1, vcc_lo, v14, v8
	v_add_co_ci_u32_e32 v5, vcc_lo, 0, v9, vcc_lo
	v_add_co_u32 v1, vcc_lo, v1, v10
	v_add_co_ci_u32_e32 v1, vcc_lo, v5, v11, vcc_lo
	v_add_co_ci_u32_e32 v5, vcc_lo, 0, v13, vcc_lo
	v_add_co_u32 v1, vcc_lo, v1, v12
	v_add_co_ci_u32_e32 v5, vcc_lo, 0, v5, vcc_lo
	v_mul_lo_u32 v10, s29, v1
	v_mad_u64_u32 v[8:9], null, s28, v1, 0
	v_mul_lo_u32 v11, s28, v5
	v_sub_co_u32 v8, vcc_lo, v6, v8
	v_add3_u32 v9, v9, v11, v10
	v_sub_nc_u32_e32 v10, v7, v9
	v_subrev_co_ci_u32_e64 v10, s0, s29, v10, vcc_lo
	v_add_co_u32 v11, s0, v1, 2
	v_add_co_ci_u32_e64 v12, s0, 0, v5, s0
	v_sub_co_u32 v13, s0, v8, s28
	v_sub_co_ci_u32_e32 v9, vcc_lo, v7, v9, vcc_lo
	v_subrev_co_ci_u32_e64 v10, s0, 0, v10, s0
	v_cmp_le_u32_e32 vcc_lo, s28, v13
	v_cmp_eq_u32_e64 s0, s29, v9
	v_cndmask_b32_e64 v13, 0, -1, vcc_lo
	v_cmp_le_u32_e32 vcc_lo, s29, v10
	v_cndmask_b32_e64 v14, 0, -1, vcc_lo
	v_cmp_le_u32_e32 vcc_lo, s28, v8
	;; [unrolled: 2-line block ×3, first 2 shown]
	v_cndmask_b32_e64 v15, 0, -1, vcc_lo
	v_cmp_eq_u32_e32 vcc_lo, s29, v10
	v_cndmask_b32_e64 v8, v15, v8, s0
	v_cndmask_b32_e32 v10, v14, v13, vcc_lo
	v_add_co_u32 v13, vcc_lo, v1, 1
	v_add_co_ci_u32_e32 v14, vcc_lo, 0, v5, vcc_lo
	v_cmp_ne_u32_e32 vcc_lo, 0, v10
	v_cndmask_b32_e32 v9, v14, v12, vcc_lo
	v_cndmask_b32_e32 v10, v13, v11, vcc_lo
	v_cmp_ne_u32_e32 vcc_lo, 0, v8
	v_cndmask_b32_e32 v31, v5, v9, vcc_lo
	v_cndmask_b32_e32 v30, v1, v10, vcc_lo
.LBB0_4:                                ;   in Loop: Header=BB0_2 Depth=1
	s_andn2_saveexec_b32 s0, s1
	s_cbranch_execz .LBB0_6
; %bb.5:                                ;   in Loop: Header=BB0_2 Depth=1
	v_cvt_f32_u32_e32 v1, s28
	s_sub_i32 s1, 0, s28
	v_mov_b32_e32 v31, v4
	v_rcp_iflag_f32_e32 v1, v1
	v_mul_f32_e32 v1, 0x4f7ffffe, v1
	v_cvt_u32_f32_e32 v1, v1
	v_mul_lo_u32 v5, s1, v1
	v_mul_hi_u32 v5, v1, v5
	v_add_nc_u32_e32 v1, v1, v5
	v_mul_hi_u32 v1, v6, v1
	v_mul_lo_u32 v5, v1, s28
	v_add_nc_u32_e32 v8, 1, v1
	v_sub_nc_u32_e32 v5, v6, v5
	v_subrev_nc_u32_e32 v9, s28, v5
	v_cmp_le_u32_e32 vcc_lo, s28, v5
	v_cndmask_b32_e32 v5, v5, v9, vcc_lo
	v_cndmask_b32_e32 v1, v1, v8, vcc_lo
	v_cmp_le_u32_e32 vcc_lo, s28, v5
	v_add_nc_u32_e32 v8, 1, v1
	v_cndmask_b32_e32 v30, v1, v8, vcc_lo
.LBB0_6:                                ;   in Loop: Header=BB0_2 Depth=1
	s_or_b32 exec_lo, exec_lo, s0
	v_mul_lo_u32 v1, v31, s28
	v_mul_lo_u32 v5, v30, s29
	s_load_dwordx2 s[0:1], s[22:23], 0x0
	v_mad_u64_u32 v[8:9], null, v30, s28, 0
	s_load_dwordx2 s[28:29], s[6:7], 0x0
	s_add_u32 s26, s26, 1
	s_addc_u32 s27, s27, 0
	s_add_u32 s6, s6, 8
	s_addc_u32 s7, s7, 0
	s_add_u32 s22, s22, 8
	v_add3_u32 v1, v9, v5, v1
	v_sub_co_u32 v5, vcc_lo, v6, v8
	s_addc_u32 s23, s23, 0
	s_add_u32 s24, s24, 8
	v_sub_co_ci_u32_e32 v1, vcc_lo, v7, v1, vcc_lo
	s_addc_u32 s25, s25, 0
	s_waitcnt lgkmcnt(0)
	v_mul_lo_u32 v6, s0, v1
	v_mul_lo_u32 v7, s1, v5
	v_mad_u64_u32 v[2:3], null, s0, v5, v[2:3]
	v_mul_lo_u32 v1, s28, v1
	v_mul_lo_u32 v8, s29, v5
	v_mad_u64_u32 v[28:29], null, s28, v5, v[28:29]
	v_cmp_ge_u64_e64 s0, s[26:27], s[10:11]
	v_add3_u32 v3, v7, v3, v6
	v_add3_u32 v29, v8, v29, v1
	s_and_b32 vcc_lo, exec_lo, s0
	s_cbranch_vccnz .LBB0_9
; %bb.7:                                ;   in Loop: Header=BB0_2 Depth=1
	v_mov_b32_e32 v6, v30
	v_mov_b32_e32 v7, v31
	s_branch .LBB0_2
.LBB0_8:
	v_mov_b32_e32 v29, v3
	v_mov_b32_e32 v31, v7
	;; [unrolled: 1-line block ×4, first 2 shown]
.LBB0_9:
	s_load_dwordx2 s[0:1], s[4:5], 0x28
	v_mul_hi_u32 v1, 0x5050506, v0
	s_lshl_b64 s[6:7], s[10:11], 3
                                        ; implicit-def: $vgpr9
                                        ; implicit-def: $vgpr7
                                        ; implicit-def: $vgpr5
                                        ; implicit-def: $vgpr19
                                        ; implicit-def: $vgpr17
                                        ; implicit-def: $vgpr13
                                        ; implicit-def: $vgpr11
                                        ; implicit-def: $vgpr39
                                        ; implicit-def: $vgpr15
                                        ; implicit-def: $vgpr21
                                        ; implicit-def: $vgpr23
                                        ; implicit-def: $vgpr27
                                        ; implicit-def: $vgpr35
                                        ; implicit-def: $vgpr25
                                        ; implicit-def: $vgpr37
                                        ; implicit-def: $vgpr41
	s_add_u32 s4, s18, s6
	s_addc_u32 s5, s19, s7
	v_mul_u32_u24_e32 v1, 51, v1
	v_sub_nc_u32_e32 v42, v0, v1
	v_mov_b32_e32 v1, 0
	v_mov_b32_e32 v0, 0
	s_waitcnt lgkmcnt(0)
	v_cmp_gt_u64_e32 vcc_lo, s[0:1], v[30:31]
	v_cmp_gt_u32_e64 s0, 39, v42
	s_and_b32 s1, vcc_lo, s0
	s_and_saveexec_b32 s10, s1
	s_cbranch_execz .LBB0_11
; %bb.10:
	s_add_u32 s6, s16, s6
	s_addc_u32 s7, s17, s7
	v_add_nc_u32_e32 v15, 0x4e, v42
	s_load_dwordx2 s[6:7], s[6:7], 0x0
	v_add_nc_u32_e32 v16, 0x75, v42
	v_mad_u64_u32 v[0:1], null, s20, v42, 0
	v_add_nc_u32_e32 v14, 39, v42
	v_mad_u64_u32 v[6:7], null, s20, v15, 0
	v_lshlrev_b64 v[2:3], 3, v[2:3]
	v_mad_u64_u32 v[8:9], null, s20, v16, 0
	v_mad_u64_u32 v[4:5], null, s20, v14, 0
	v_add_nc_u32_e32 v17, 0x9c, v42
	v_mad_u64_u32 v[12:13], null, s21, v42, v[1:2]
	v_mov_b32_e32 v1, v7
	v_mov_b32_e32 v7, v9
	v_add_nc_u32_e32 v20, 0xea, v42
	v_mad_u64_u32 v[13:14], null, s21, v14, v[5:6]
	s_waitcnt lgkmcnt(0)
	v_mul_lo_u32 v18, s7, v30
	v_mul_lo_u32 v19, s6, v31
	v_mad_u64_u32 v[10:11], null, s6, v30, 0
	v_mad_u64_u32 v[14:15], null, s21, v15, v[1:2]
	v_mov_b32_e32 v1, v12
	v_mov_b32_e32 v5, v13
	v_add_nc_u32_e32 v21, 0x111, v42
	v_add_nc_u32_e32 v22, 0x138, v42
	v_add3_u32 v11, v11, v19, v18
	v_add_nc_u32_e32 v18, 0xc3, v42
	v_lshlrev_b64 v[0:1], 3, v[0:1]
	v_lshlrev_b64 v[4:5], 3, v[4:5]
	v_add_nc_u32_e32 v26, 0x15f, v42
	v_lshlrev_b64 v[9:10], 3, v[10:11]
	v_mad_u64_u32 v[11:12], null, s21, v16, v[7:8]
	v_mov_b32_e32 v7, v14
	v_mad_u64_u32 v[12:13], null, s20, v17, 0
	v_add_co_u32 v9, s1, s12, v9
	v_mad_u64_u32 v[14:15], null, s20, v18, 0
	v_add_co_ci_u32_e64 v10, s1, s13, v10, s1
	v_add_co_u32 v50, s1, v9, v2
	v_mov_b32_e32 v9, v11
	v_add_co_ci_u32_e64 v51, s1, v10, v3, s1
	v_lshlrev_b64 v[2:3], 3, v[6:7]
	v_mov_b32_e32 v6, v13
	v_lshlrev_b64 v[8:9], 3, v[8:9]
	v_mov_b32_e32 v7, v15
	v_add_co_u32 v0, s1, v50, v0
	v_add_co_ci_u32_e64 v1, s1, v51, v1, s1
	v_mad_u64_u32 v[10:11], null, s21, v17, v[6:7]
	v_mad_u64_u32 v[6:7], null, s21, v18, v[7:8]
	v_add_co_u32 v4, s1, v50, v4
	v_add_co_ci_u32_e64 v5, s1, v51, v5, s1
	v_add_co_u32 v2, s1, v50, v2
	v_add_co_ci_u32_e64 v3, s1, v51, v3, s1
	v_mov_b32_e32 v13, v10
	v_mov_b32_e32 v15, v6
	v_add_co_u32 v16, s1, v50, v8
	v_add_co_ci_u32_e64 v17, s1, v51, v9, s1
	v_mad_u64_u32 v[10:11], null, s20, v20, 0
	s_clause 0x3
	global_load_dwordx2 v[0:1], v[0:1], off
	global_load_dwordx2 v[8:9], v[4:5], off
	;; [unrolled: 1-line block ×4, first 2 shown]
	v_lshlrev_b64 v[2:3], 3, v[12:13]
	v_lshlrev_b64 v[12:13], 3, v[14:15]
	v_mad_u64_u32 v[18:19], null, s20, v21, 0
	v_add_nc_u32_e32 v32, 0x186, v42
	v_add_nc_u32_e32 v36, 0x1d4, v42
	v_add_co_u32 v2, s1, v50, v2
	v_mad_u64_u32 v[15:16], null, s21, v20, v[11:12]
	v_mov_b32_e32 v14, v19
	v_add_co_ci_u32_e64 v3, s1, v51, v3, s1
	v_add_co_u32 v12, s1, v50, v12
	v_add_co_ci_u32_e64 v13, s1, v51, v13, s1
	v_mad_u64_u32 v[16:17], null, s21, v21, v[14:15]
	v_mad_u64_u32 v[20:21], null, s20, v22, 0
	v_mov_b32_e32 v11, v15
	v_mad_u64_u32 v[24:25], null, s20, v32, 0
	v_add_nc_u32_e32 v37, 0x1fb, v42
	v_mov_b32_e32 v19, v16
	v_lshlrev_b64 v[10:11], 3, v[10:11]
	v_mov_b32_e32 v14, v21
	v_add_nc_u32_e32 v52, 0x249, v42
	v_mad_u64_u32 v[34:35], null, s20, v37, 0
	v_lshlrev_b64 v[15:16], 3, v[18:19]
	v_add_co_u32 v10, s1, v50, v10
	v_add_co_ci_u32_e64 v11, s1, v51, v11, s1
	v_mad_u64_u32 v[45:46], null, s20, v52, 0
	v_mad_u64_u32 v[17:18], null, s21, v22, v[14:15]
	;; [unrolled: 1-line block ×3, first 2 shown]
	v_add_co_u32 v14, s1, v50, v15
	v_add_co_ci_u32_e64 v15, s1, v51, v16, s1
	v_mov_b32_e32 v21, v17
	v_add_nc_u32_e32 v53, 0x270, v42
	v_mov_b32_e32 v16, v23
	v_mad_u64_u32 v[26:27], null, s21, v26, v[16:17]
	s_clause 0x3
	global_load_dwordx2 v[18:19], v[2:3], off
	global_load_dwordx2 v[16:17], v[12:13], off
	;; [unrolled: 1-line block ×4, first 2 shown]
	v_add_nc_u32_e32 v27, 0x1ad, v42
	v_lshlrev_b64 v[2:3], 3, v[20:21]
	v_mov_b32_e32 v14, v25
	v_mad_u64_u32 v[20:21], null, s20, v27, 0
	v_mad_u64_u32 v[14:15], null, s21, v32, v[14:15]
	v_mov_b32_e32 v23, v26
	v_add_co_u32 v2, s1, v50, v2
	v_add_co_ci_u32_e64 v3, s1, v51, v3, s1
	v_mov_b32_e32 v15, v21
	v_mov_b32_e32 v25, v14
	v_lshlrev_b64 v[21:22], 3, v[22:23]
	v_add_co_u32 v32, s1, v50, v21
	v_add_co_ci_u32_e64 v33, s1, v51, v22, s1
	v_lshlrev_b64 v[22:23], 3, v[24:25]
	v_add_nc_u32_e32 v24, 0x222, v42
	v_mad_u64_u32 v[43:44], null, s20, v24, 0
	v_add_co_u32 v22, s1, v50, v22
	v_add_co_ci_u32_e64 v23, s1, v51, v23, s1
	s_waitcnt vmcnt(2)
	v_mad_u64_u32 v[14:15], null, s21, v27, v[15:16]
	v_mad_u64_u32 v[26:27], null, s20, v36, 0
	v_mov_b32_e32 v21, v14
	v_mov_b32_e32 v14, v27
	v_lshlrev_b64 v[20:21], 3, v[20:21]
	v_mad_u64_u32 v[14:15], null, s21, v36, v[14:15]
	v_mov_b32_e32 v15, v35
	v_add_co_u32 v20, s1, v50, v20
	v_add_co_ci_u32_e64 v21, s1, v51, v21, s1
	v_mov_b32_e32 v27, v14
	v_mad_u64_u32 v[14:15], null, s21, v37, v[15:16]
	v_mov_b32_e32 v15, v44
	v_mad_u64_u32 v[47:48], null, s21, v24, v[15:16]
	v_mad_u64_u32 v[48:49], null, s20, v53, 0
	s_clause 0x3
	global_load_dwordx2 v[38:39], v[2:3], off
	global_load_dwordx2 v[40:41], v[32:33], off
	;; [unrolled: 1-line block ×4, first 2 shown]
	v_mov_b32_e32 v2, v46
	v_lshlrev_b64 v[20:21], 3, v[26:27]
	v_mov_b32_e32 v35, v14
	v_mov_b32_e32 v44, v47
	v_mad_u64_u32 v[2:3], null, s21, v52, v[2:3]
	v_mov_b32_e32 v3, v49
	v_add_co_u32 v14, s1, v50, v20
	v_add_co_ci_u32_e64 v15, s1, v51, v21, s1
	v_mad_u64_u32 v[22:23], null, s21, v53, v[3:4]
	v_lshlrev_b64 v[20:21], 3, v[34:35]
	v_lshlrev_b64 v[26:27], 3, v[43:44]
	v_mov_b32_e32 v46, v2
	v_add_co_u32 v2, s1, v50, v20
	v_mov_b32_e32 v49, v22
	v_add_co_ci_u32_e64 v3, s1, v51, v21, s1
	v_lshlrev_b64 v[20:21], 3, v[45:46]
	v_add_co_u32 v22, s1, v50, v26
	v_add_co_ci_u32_e64 v23, s1, v51, v27, s1
	v_lshlrev_b64 v[26:27], 3, v[48:49]
	v_add_co_u32 v20, s1, v50, v20
	v_add_co_ci_u32_e64 v21, s1, v51, v21, s1
	v_add_co_u32 v32, s1, v50, v26
	v_add_co_ci_u32_e64 v33, s1, v51, v27, s1
	s_clause 0x4
	global_load_dwordx2 v[34:35], v[14:15], off
	global_load_dwordx2 v[26:27], v[2:3], off
	;; [unrolled: 1-line block ×5, first 2 shown]
.LBB0_11:
	s_or_b32 exec_lo, exec_lo, s10
	s_waitcnt vmcnt(0)
	v_add_f32_e32 v59, v8, v14
	v_sub_f32_e32 v63, v8, v14
	v_sub_f32_e32 v43, v9, v15
	v_add_f32_e32 v60, v6, v20
	v_add_f32_e32 v46, v9, v15
	v_mul_f32_e32 v75, 0x3ee437d1, v59
	v_sub_f32_e32 v44, v7, v21
	v_mul_f32_e32 v81, 0xbf65296c, v63
	v_mul_f32_e32 v76, 0xbf1a4643, v60
	v_sub_f32_e32 v61, v6, v20
	v_fmamk_f32 v2, v43, 0xbf65296c, v75
	v_add_f32_e32 v45, v7, v21
	v_add_f32_e32 v62, v4, v22
	v_fma_f32 v3, 0x3ee437d1, v46, -v81
	v_fmamk_f32 v32, v44, 0xbf4c4adb, v76
	v_add_f32_e32 v2, v0, v2
	v_sub_f32_e32 v64, v4, v22
	v_mul_f32_e32 v84, 0xbf4c4adb, v61
	v_sub_f32_e32 v47, v5, v23
	v_add_f32_e32 v3, v1, v3
	v_add_f32_e32 v2, v2, v32
	v_mul_f32_e32 v77, 0xbf7ba420, v62
	v_fma_f32 v32, 0xbf1a4643, v45, -v84
	v_add_f32_e32 v65, v18, v26
	v_add_f32_e32 v49, v5, v23
	v_mul_f32_e32 v86, 0x3e3c28d5, v64
	v_sub_f32_e32 v66, v18, v26
	v_fmamk_f32 v33, v47, 0x3e3c28d5, v77
	v_sub_f32_e32 v48, v19, v27
	v_mul_f32_e32 v78, 0xbe8c1d8e, v65
	v_add_f32_e32 v3, v3, v32
	v_fma_f32 v32, 0xbf7ba420, v49, -v86
	v_add_f32_e32 v67, v16, v34
	v_add_f32_e32 v51, v19, v27
	v_mul_f32_e32 v87, 0x3f763a35, v66
	v_sub_f32_e32 v68, v16, v34
	v_add_f32_e32 v2, v2, v33
	v_fmamk_f32 v33, v48, 0x3f763a35, v78
	v_sub_f32_e32 v50, v17, v35
	v_mul_f32_e32 v79, 0x3f3d2fb0, v67
	v_add_f32_e32 v3, v3, v32
	v_fma_f32 v32, 0xbe8c1d8e, v51, -v87
	v_add_f32_e32 v52, v17, v35
	v_mul_f32_e32 v88, 0x3f2c7751, v68
	v_add_f32_e32 v69, v12, v24
	v_sub_f32_e32 v70, v12, v24
	v_add_f32_e32 v2, v2, v33
	v_fmamk_f32 v33, v50, 0x3f2c7751, v79
	v_add_f32_e32 v3, v3, v32
	v_fma_f32 v32, 0x3f3d2fb0, v52, -v88
	v_sub_f32_e32 v53, v13, v25
	v_mul_f32_e32 v82, 0x3f6eb680, v69
	v_add_f32_e32 v54, v13, v25
	v_mul_f32_e32 v90, 0xbeb8f4ab, v70
	v_add_f32_e32 v71, v10, v36
	v_sub_f32_e32 v72, v10, v36
	v_add_f32_e32 v2, v2, v33
	v_add_f32_e32 v3, v3, v32
	v_fmamk_f32 v32, v53, 0xbeb8f4ab, v82
	v_fma_f32 v33, 0x3f6eb680, v54, -v90
	v_sub_f32_e32 v55, v11, v37
	v_mul_f32_e32 v80, 0x3dbcf732, v71
	v_add_f32_e32 v56, v11, v37
	v_mul_f32_e32 v89, 0xbf7ee86f, v72
	v_add_f32_e32 v2, v2, v32
	v_add_f32_e32 v3, v3, v33
	v_fmamk_f32 v32, v55, 0xbf7ee86f, v80
	v_mul_f32_e32 v94, 0x3dbcf732, v59
	v_fma_f32 v33, 0x3dbcf732, v56, -v89
	v_mul_f32_e32 v106, 0xbf7ee86f, v63
	v_mul_f32_e32 v97, 0xbf7ba420, v60
	v_add_f32_e32 v2, v2, v32
	v_fmamk_f32 v32, v43, 0xbf7ee86f, v94
	v_add_f32_e32 v3, v3, v33
	v_fma_f32 v33, 0x3dbcf732, v46, -v106
	v_mul_f32_e32 v107, 0xbe3c28d5, v61
	v_fmamk_f32 v58, v44, 0xbe3c28d5, v97
	v_add_f32_e32 v32, v0, v32
	v_mul_f32_e32 v98, 0xbe8c1d8e, v62
	v_add_f32_e32 v33, v1, v33
	v_fma_f32 v74, 0xbf7ba420, v45, -v107
	v_mul_f32_e32 v103, 0x3f763a35, v64
	v_add_f32_e32 v32, v32, v58
	v_fmamk_f32 v58, v47, 0x3f763a35, v98
	v_mul_f32_e32 v100, 0x3f6eb680, v65
	v_add_f32_e32 v33, v33, v74
	v_fma_f32 v74, 0xbe8c1d8e, v49, -v103
	v_mul_f32_e32 v104, 0x3eb8f4ab, v66
	v_add_f32_e32 v32, v32, v58
	v_fmamk_f32 v58, v48, 0x3eb8f4ab, v100
	v_mul_f32_e32 v101, 0x3ee437d1, v67
	v_add_f32_e32 v33, v33, v74
	v_fma_f32 v91, 0x3f6eb680, v51, -v104
	v_mul_f32_e32 v105, 0xbf65296c, v68
	v_add_f32_e32 v32, v32, v58
	v_mul_f32_e32 v95, 0xbf59a7d5, v69
	v_mul_f32_e32 v102, 0xbf06c442, v70
	v_add_f32_e32 v33, v33, v91
	v_fmamk_f32 v91, v50, 0xbf65296c, v101
	v_fma_f32 v92, 0x3ee437d1, v52, -v105
	v_add_f32_e32 v73, v38, v40
	v_sub_f32_e32 v74, v38, v40
	v_fma_f32 v96, 0xbf59a7d5, v54, -v102
	v_add_f32_e32 v32, v32, v91
	v_add_f32_e32 v33, v33, v92
	v_fmamk_f32 v92, v53, 0xbf06c442, v95
	v_mul_f32_e32 v93, 0xbf1a4643, v71
	v_mul_f32_e32 v99, 0x3f4c4adb, v72
	v_sub_f32_e32 v57, v39, v41
	v_mul_f32_e32 v85, 0xbf59a7d5, v73
	v_add_f32_e32 v58, v39, v41
	v_mul_f32_e32 v91, 0xbf06c442, v74
	v_add_f32_e32 v32, v32, v92
	v_add_f32_e32 v33, v33, v96
	v_fmamk_f32 v108, v55, 0x3f4c4adb, v93
	v_fma_f32 v109, 0xbf1a4643, v56, -v99
	v_mul_f32_e32 v92, 0x3f3d2fb0, v73
	v_mul_f32_e32 v96, 0x3f2c7751, v74
	v_fmamk_f32 v83, v57, 0xbf06c442, v85
	v_fma_f32 v110, 0xbf59a7d5, v58, -v91
	v_add_f32_e32 v108, v32, v108
	v_add_f32_e32 v109, v33, v109
	v_fmamk_f32 v111, v57, 0x3f2c7751, v92
	v_fma_f32 v112, 0x3f3d2fb0, v58, -v96
	v_add_f32_e32 v32, v2, v83
	v_add_f32_e32 v33, v3, v110
	;; [unrolled: 1-line block ×4, first 2 shown]
	s_and_saveexec_b32 s1, s0
	s_cbranch_execz .LBB0_13
; %bb.12:
	v_mul_f32_e32 v83, 0xbe3c28d5, v63
	v_add_f32_e32 v9, v1, v9
	v_add_f32_e32 v8, v0, v8
	v_mul_f32_e32 v112, 0x3eb8f4ab, v61
	v_mul_f32_e32 v111, 0xbf06c442, v64
	v_fmamk_f32 v113, v46, 0xbf7ba420, v83
	v_add_f32_e32 v7, v9, v7
	v_add_f32_e32 v6, v8, v6
	v_fmamk_f32 v114, v45, 0x3f6eb680, v112
	v_mul_f32_e32 v110, 0x3f2c7751, v66
	v_add_f32_e32 v115, v1, v113
	v_mul_f32_e32 v113, 0xbf7ba420, v59
	v_fmamk_f32 v8, v49, 0xbf59a7d5, v111
	v_add_f32_e32 v5, v7, v5
	v_add_f32_e32 v4, v6, v4
	;; [unrolled: 1-line block ×3, first 2 shown]
	v_mul_f32_e32 v115, 0x3f6eb680, v60
	v_fmamk_f32 v7, v43, 0x3e3c28d5, v113
	v_mul_f32_e32 v109, 0xbf4c4adb, v68
	v_fmamk_f32 v114, v51, 0x3f3d2fb0, v110
	v_add_f32_e32 v6, v9, v8
	v_fmamk_f32 v8, v44, 0xbeb8f4ab, v115
	v_add_f32_e32 v5, v5, v19
	v_add_f32_e32 v4, v4, v18
	;; [unrolled: 1-line block ×3, first 2 shown]
	v_mul_f32_e32 v18, 0xbf59a7d5, v62
	v_mul_f32_e32 v108, 0x3f65296c, v70
	v_add_f32_e32 v6, v6, v114
	v_fmamk_f32 v9, v52, 0xbf1a4643, v109
	v_add_f32_e32 v5, v5, v17
	v_add_f32_e32 v7, v7, v8
	v_fmamk_f32 v8, v47, 0x3f06c442, v18
	v_mul_f32_e32 v17, 0x3f3d2fb0, v65
	v_fmamk_f32 v114, v54, 0x3ee437d1, v108
	v_add_f32_e32 v6, v6, v9
	v_mul_f32_e32 v19, 0xbf1a4643, v67
	v_add_f32_e32 v7, v7, v8
	v_fmamk_f32 v8, v48, 0xbf2c7751, v17
	v_add_f32_e32 v4, v4, v16
	v_mul_f32_e32 v16, 0xbf763a35, v72
	v_add_f32_e32 v5, v5, v13
	v_add_f32_e32 v6, v6, v114
	;; [unrolled: 1-line block ×3, first 2 shown]
	v_fmamk_f32 v8, v50, 0x3f4c4adb, v19
	v_mul_f32_e32 v114, 0x3ee437d1, v69
	v_fmamk_f32 v9, v56, 0xbe8c1d8e, v16
	v_add_f32_e32 v4, v4, v12
	v_add_f32_e32 v5, v5, v11
	v_add_f32_e32 v7, v7, v8
	v_fmamk_f32 v8, v53, 0xbf65296c, v114
	v_mul_f32_e32 v116, 0xbe8c1d8e, v71
	v_mul_f32_e32 v117, 0x3f7ee86f, v74
	v_add_f32_e32 v6, v6, v9
	v_add_f32_e32 v4, v4, v10
	;; [unrolled: 1-line block ×4, first 2 shown]
	v_fmamk_f32 v7, v55, 0x3f763a35, v116
	v_fmamk_f32 v8, v58, 0x3dbcf732, v117
	v_mul_f32_e32 v39, 0xbf06c442, v63
	v_add_f32_e32 v4, v4, v38
	v_mul_f32_e32 v38, 0x3dbcf732, v73
	v_add_f32_e32 v7, v5, v7
	v_add_f32_e32 v5, v6, v8
	v_fmamk_f32 v6, v46, 0xbf59a7d5, v39
	v_mul_f32_e32 v118, 0x3f65296c, v61
	v_add_f32_e32 v9, v9, v41
	v_fmamk_f32 v8, v57, 0xbf7ee86f, v38
	v_add_f32_e32 v10, v4, v40
	v_add_f32_e32 v6, v1, v6
	v_fmamk_f32 v11, v45, 0x3ee437d1, v118
	v_mul_f32_e32 v40, 0xbf7ee86f, v64
	v_add_f32_e32 v9, v37, v9
	v_add_f32_e32 v4, v7, v8
	;; [unrolled: 1-line block ×4, first 2 shown]
	v_fmamk_f32 v8, v49, 0x3dbcf732, v40
	v_add_f32_e32 v9, v25, v9
	v_mul_f32_e32 v37, 0x3f4c4adb, v66
	v_mul_f32_e32 v36, 0xbf59a7d5, v59
	v_add_f32_e32 v7, v24, v7
	v_add_f32_e32 v6, v6, v8
	;; [unrolled: 1-line block ×3, first 2 shown]
	v_fmamk_f32 v9, v51, 0xbf1a4643, v37
	v_fmamk_f32 v10, v43, 0x3f06c442, v36
	v_mul_f32_e32 v24, 0x3ee437d1, v60
	v_add_f32_e32 v7, v34, v7
	v_mul_f32_e32 v25, 0x3dbcf732, v62
	v_add_f32_e32 v6, v6, v9
	v_add_f32_e32 v9, v0, v10
	v_fmamk_f32 v10, v44, 0xbf65296c, v24
	v_mul_f32_e32 v119, 0xbeb8f4ab, v68
	v_add_f32_e32 v8, v27, v8
	v_add_f32_e32 v7, v26, v7
	v_mul_f32_e32 v26, 0xbf1a4643, v65
	v_add_f32_e32 v9, v9, v10
	v_fmamk_f32 v10, v47, 0x3f7ee86f, v25
	v_fmamk_f32 v11, v52, 0x3f6eb680, v119
	v_mul_f32_e32 v130, 0xbe3c28d5, v70
	v_add_f32_e32 v8, v23, v8
	v_add_f32_e32 v7, v22, v7
	;; [unrolled: 1-line block ×3, first 2 shown]
	v_fmamk_f32 v10, v48, 0xbf4c4adb, v26
	v_mul_f32_e32 v22, 0x3f6eb680, v67
	v_add_f32_e32 v6, v6, v11
	v_fmamk_f32 v11, v54, 0xbf7ba420, v130
	v_add_f32_e32 v8, v21, v8
	v_add_f32_e32 v9, v9, v10
	v_fmamk_f32 v10, v50, 0x3eb8f4ab, v22
	v_mul_f32_e32 v21, 0xbf7ba420, v69
	v_mul_f32_e32 v41, 0x3f2c7751, v72
	v_add_f32_e32 v12, v20, v7
	v_add_f32_e32 v6, v6, v11
	;; [unrolled: 1-line block ×3, first 2 shown]
	v_fmamk_f32 v10, v53, 0x3e3c28d5, v21
	v_mul_f32_e32 v20, 0x3f3d2fb0, v71
	v_fmamk_f32 v11, v56, 0x3f3d2fb0, v41
	v_mul_f32_e32 v27, 0xbf763a35, v74
	v_add_f32_e32 v7, v15, v8
	v_add_f32_e32 v8, v9, v10
	v_fmamk_f32 v9, v55, 0xbf2c7751, v20
	v_add_f32_e32 v10, v6, v11
	v_fmamk_f32 v11, v58, 0xbe8c1d8e, v27
	v_mul_f32_e32 v135, 0xbf4c4adb, v63
	v_mul_f32_e32 v125, 0xbf1a4643, v59
	v_add_f32_e32 v8, v8, v9
	v_mul_f32_e32 v148, 0x3f763a35, v61
	v_add_f32_e32 v9, v10, v11
	v_fmamk_f32 v10, v46, 0xbf1a4643, v135
	v_fmamk_f32 v11, v43, 0x3f4c4adb, v125
	v_mul_f32_e32 v126, 0xbe8c1d8e, v60
	v_add_f32_e32 v6, v14, v12
	v_fmamk_f32 v12, v45, 0xbe8c1d8e, v148
	v_add_f32_e32 v10, v1, v10
	v_mul_f32_e32 v142, 0xbeb8f4ab, v64
	v_add_f32_e32 v11, v0, v11
	v_fmamk_f32 v13, v44, 0xbf763a35, v126
	v_mul_f32_e32 v127, 0x3f6eb680, v62
	v_add_f32_e32 v10, v10, v12
	v_fmamk_f32 v12, v49, 0x3f6eb680, v142
	;; [unrolled: 3-line block ×5, first 2 shown]
	v_mul_f32_e32 v120, 0x3dbcf732, v67
	v_mul_f32_e32 v34, 0xbe8c1d8e, v73
	v_add_f32_e32 v10, v10, v12
	v_fmamk_f32 v12, v52, 0x3dbcf732, v144
	v_mul_f32_e32 v139, 0xbf2c7751, v70
	v_add_f32_e32 v11, v11, v13
	v_fmamk_f32 v13, v50, 0xbf7ee86f, v120
	;; [unrolled: 3-line block ×4, first 2 shown]
	v_mul_f32_e32 v35, 0xbf7ba420, v71
	v_fmamk_f32 v14, v57, 0x3f763a35, v34
	v_mul_f32_e32 v146, 0xbf763a35, v63
	v_mul_f32_e32 v147, 0xbe8c1d8e, v59
	v_add_f32_e32 v10, v10, v12
	v_fmamk_f32 v12, v56, 0xbf7ba420, v140
	v_add_f32_e32 v11, v11, v13
	v_fmamk_f32 v13, v55, 0x3e3c28d5, v35
	;; [unrolled: 2-line block ×3, first 2 shown]
	v_mul_f32_e32 v128, 0x3f06c442, v61
	v_fmamk_f32 v15, v43, 0x3f763a35, v147
	v_mul_f32_e32 v132, 0xbf59a7d5, v60
	v_add_f32_e32 v10, v10, v12
	v_add_f32_e32 v12, v11, v13
	;; [unrolled: 1-line block ×3, first 2 shown]
	v_fmamk_f32 v13, v45, 0xbf59a7d5, v128
	v_mul_f32_e32 v122, 0x3f2c7751, v64
	v_add_f32_e32 v15, v0, v15
	v_fmamk_f32 v131, v44, 0xbf06c442, v132
	v_mul_f32_e32 v134, 0x3f3d2fb0, v62
	v_add_f32_e32 v11, v11, v13
	;; [unrolled: 3-line block ×5, first 2 shown]
	v_fmamk_f32 v138, v48, 0x3f65296c, v136
	v_mul_f32_e32 v137, 0xbf7ba420, v67
	v_mul_f32_e32 v149, 0x3f65296c, v74
	v_add_f32_e32 v11, v11, v13
	v_fmamk_f32 v13, v52, 0xbf7ba420, v129
	v_mul_f32_e32 v131, 0x3f7ee86f, v70
	v_add_f32_e32 v15, v15, v138
	v_fmamk_f32 v141, v50, 0x3e3c28d5, v137
	v_mul_f32_e32 v138, 0x3dbcf732, v69
	v_mul_f32_e32 v23, 0x3ee437d1, v73
	v_fmamk_f32 v14, v58, 0x3ee437d1, v149
	v_add_f32_e32 v11, v11, v13
	v_fmamk_f32 v13, v54, 0x3dbcf732, v131
	v_mul_f32_e32 v133, 0xbeb8f4ab, v72
	v_add_f32_e32 v15, v15, v141
	v_fmamk_f32 v152, v53, 0xbf7ee86f, v138
	v_fmamk_f32 v150, v57, 0xbf65296c, v23
	v_add_f32_e32 v13, v11, v13
	v_fmamk_f32 v151, v56, 0x3f6eb680, v133
	v_add_f32_e32 v11, v10, v14
	v_mul_f32_e32 v141, 0x3f6eb680, v71
	v_add_f32_e32 v14, v15, v152
	v_mul_f32_e32 v15, 0x3dbcf732, v46
	v_mul_f32_e32 v153, 0xbf7ba420, v45
	v_add_f32_e32 v13, v13, v151
	v_fmamk_f32 v151, v55, 0x3eb8f4ab, v141
	v_add_f32_e32 v10, v12, v150
	v_add_f32_e32 v12, v15, v106
	;; [unrolled: 1-line block ×3, first 2 shown]
	v_mul_f32_e32 v107, 0xbf7ee86f, v43
	v_add_f32_e32 v14, v14, v151
	v_mul_f32_e32 v151, 0xbe3c28d5, v44
	v_add_f32_e32 v12, v1, v12
	v_mul_f32_e32 v150, 0xbe8c1d8e, v49
	v_sub_f32_e32 v94, v94, v107
	v_mul_f32_e32 v107, 0x3f763a35, v47
	v_sub_f32_e32 v97, v97, v151
	v_mul_f32_e32 v106, 0xbf1a4643, v73
	v_add_f32_e32 v12, v12, v15
	v_add_f32_e32 v94, v0, v94
	;; [unrolled: 1-line block ×3, first 2 shown]
	v_mul_f32_e32 v103, 0x3f6eb680, v51
	v_mul_f32_e32 v145, 0xbf4c4adb, v74
	v_fmac_f32_e32 v113, 0xbe3c28d5, v43
	v_add_f32_e32 v94, v94, v97
	v_sub_f32_e32 v97, v98, v107
	v_mul_f32_e32 v98, 0x3eb8f4ab, v48
	v_add_f32_e32 v12, v12, v15
	v_add_f32_e32 v15, v103, v104
	v_mul_f32_e32 v103, 0x3ee437d1, v52
	v_fmamk_f32 v104, v57, 0x3f4c4adb, v106
	v_add_f32_e32 v94, v94, v97
	v_sub_f32_e32 v97, v100, v98
	v_mul_f32_e32 v98, 0xbf65296c, v50
	v_add_f32_e32 v15, v12, v15
	v_add_f32_e32 v103, v103, v105
	v_add_f32_e32 v12, v14, v104
	v_mul_f32_e32 v14, 0xbf59a7d5, v54
	v_add_f32_e32 v94, v94, v97
	v_sub_f32_e32 v97, v101, v98
	v_mul_f32_e32 v98, 0xbf06c442, v53
	v_add_f32_e32 v15, v15, v103
	v_add_f32_e32 v14, v14, v102
	v_mul_f32_e32 v101, 0x3ee437d1, v46
	v_add_f32_e32 v94, v94, v97
	v_sub_f32_e32 v95, v95, v98
	v_mul_f32_e32 v100, 0xbf1a4643, v56
	v_add_f32_e32 v14, v15, v14
	v_mul_f32_e32 v15, 0xbf1a4643, v45
	v_add_f32_e32 v81, v101, v81
	v_add_f32_e32 v94, v94, v95
	v_mul_f32_e32 v95, 0x3f4c4adb, v55
	v_add_f32_e32 v97, v100, v99
	v_add_f32_e32 v15, v15, v84
	;; [unrolled: 1-line block ×3, first 2 shown]
	v_mul_f32_e32 v84, 0xbf7ba420, v49
	v_sub_f32_e32 v93, v93, v95
	v_mul_f32_e32 v98, 0x3f3d2fb0, v58
	v_add_f32_e32 v14, v14, v97
	v_add_f32_e32 v15, v81, v15
	;; [unrolled: 1-line block ×4, first 2 shown]
	v_mul_f32_e32 v93, 0xbf65296c, v43
	v_mul_f32_e32 v94, 0xbe8c1d8e, v51
	v_add_f32_e32 v84, v98, v96
	v_add_f32_e32 v15, v15, v81
	v_mul_f32_e32 v81, 0xbf4c4adb, v44
	v_sub_f32_e32 v75, v75, v93
	v_add_f32_e32 v87, v94, v87
	v_mul_f32_e32 v93, 0x3f3d2fb0, v52
	v_mul_f32_e32 v95, 0x3f2c7751, v57
	v_sub_f32_e32 v76, v76, v81
	v_add_f32_e32 v75, v0, v75
	v_add_f32_e32 v81, v15, v87
	v_mul_f32_e32 v87, 0x3e3c28d5, v47
	v_add_f32_e32 v15, v14, v84
	v_mul_f32_e32 v84, 0x3f763a35, v48
	v_add_f32_e32 v75, v75, v76
	v_add_f32_e32 v88, v93, v88
	v_sub_f32_e32 v77, v77, v87
	v_mul_f32_e32 v76, 0x3f6eb680, v54
	v_mul_f32_e32 v87, 0xbf4c4adb, v64
	v_sub_f32_e32 v92, v92, v95
	v_add_f32_e32 v81, v81, v88
	v_add_f32_e32 v75, v75, v77
	v_sub_f32_e32 v77, v78, v84
	v_mul_f32_e32 v78, 0x3f2c7751, v50
	v_mul_f32_e32 v84, 0xbf2c7751, v63
	v_add_f32_e32 v76, v76, v90
	v_mul_f32_e32 v88, 0xbe3c28d5, v66
	v_add_f32_e32 v75, v75, v77
	v_sub_f32_e32 v77, v79, v78
	v_fmamk_f32 v78, v46, 0x3f3d2fb0, v84
	v_mul_f32_e32 v79, 0xbf7ee86f, v61
	v_add_f32_e32 v14, v86, v92
	v_add_f32_e32 v76, v81, v76
	;; [unrolled: 1-line block ×4, first 2 shown]
	v_fmamk_f32 v78, v45, 0x3dbcf732, v79
	v_mul_f32_e32 v81, 0x3dbcf732, v56
	v_mul_f32_e32 v86, 0xbeb8f4ab, v53
	v_fmamk_f32 v92, v51, 0xbf7ba420, v88
	v_mul_f32_e32 v93, 0x3f06c442, v68
	v_add_f32_e32 v77, v77, v78
	v_fmamk_f32 v78, v49, 0xbf1a4643, v87
	v_add_f32_e32 v81, v81, v89
	v_sub_f32_e32 v82, v82, v86
	v_mul_f32_e32 v86, 0x3f3d2fb0, v59
	v_mul_f32_e32 v95, 0x3f763a35, v70
	v_add_f32_e32 v77, v77, v78
	v_add_f32_e32 v76, v76, v81
	v_mul_f32_e32 v81, 0xbf7ee86f, v55
	v_add_f32_e32 v75, v75, v82
	v_fmamk_f32 v82, v43, 0x3f2c7751, v86
	v_add_f32_e32 v77, v77, v92
	v_fmamk_f32 v92, v52, 0xbf59a7d5, v93
	v_mul_f32_e32 v89, 0x3dbcf732, v60
	v_mul_f32_e32 v90, 0xbf59a7d5, v58
	;; [unrolled: 1-line block ×3, first 2 shown]
	v_sub_f32_e32 v80, v80, v81
	v_add_f32_e32 v77, v77, v92
	v_fmamk_f32 v92, v54, 0xbe8c1d8e, v95
	v_add_f32_e32 v78, v0, v82
	v_fmamk_f32 v81, v44, 0x3f7ee86f, v89
	v_mul_f32_e32 v82, 0xbf1a4643, v62
	v_add_f32_e32 v90, v90, v91
	v_add_f32_e32 v77, v77, v92
	v_fmamk_f32 v92, v56, 0x3ee437d1, v96
	v_mul_f32_e32 v63, 0xbeb8f4ab, v63
	v_add_f32_e32 v78, v78, v81
	v_fmamk_f32 v81, v47, 0x3f4c4adb, v82
	v_mul_f32_e32 v91, 0xbf7ba420, v65
	v_add_f32_e32 v76, v76, v90
	v_add_f32_e32 v77, v77, v92
	v_mul_f32_e32 v90, 0x3f6eb680, v59
	v_fmamk_f32 v92, v46, 0x3f6eb680, v63
	v_mul_f32_e32 v98, 0xbf2c7751, v61
	v_mul_f32_e32 v94, 0xbf06c442, v57
	v_add_f32_e32 v75, v75, v80
	v_add_f32_e32 v78, v78, v81
	v_fmamk_f32 v80, v48, 0x3e3c28d5, v91
	v_mul_f32_e32 v81, 0xbf59a7d5, v67
	v_fmamk_f32 v99, v43, 0x3eb8f4ab, v90
	v_mul_f32_e32 v100, 0x3f3d2fb0, v60
	v_add_f32_e32 v60, v1, v92
	v_fmamk_f32 v92, v45, 0x3f3d2fb0, v98
	v_mul_f32_e32 v64, 0xbf65296c, v64
	v_sub_f32_e32 v85, v85, v94
	v_add_f32_e32 v78, v78, v80
	v_fmamk_f32 v80, v50, 0xbf06c442, v81
	v_mul_f32_e32 v94, 0xbe8c1d8e, v69
	v_add_f32_e32 v99, v0, v99
	v_fmamk_f32 v101, v44, 0x3f2c7751, v100
	v_mul_f32_e32 v102, 0x3ee437d1, v62
	;; [unrolled: 3-line block ×6, first 2 shown]
	v_add_f32_e32 v78, v78, v80
	v_fmamk_f32 v80, v55, 0xbf65296c, v97
	v_add_f32_e32 v92, v92, v99
	v_fmamk_f32 v99, v48, 0x3f7ee86f, v65
	v_mul_f32_e32 v67, 0xbe8c1d8e, v67
	v_add_f32_e32 v60, v60, v62
	v_fmamk_f32 v62, v52, 0xbe8c1d8e, v68
	v_mul_f32_e32 v70, 0xbf4c4adb, v70
	v_add_f32_e32 v75, v75, v85
	v_mul_f32_e32 v85, 0x3eb8f4ab, v74
	v_add_f32_e32 v78, v78, v80
	;; [unrolled: 2-line block ×3, first 2 shown]
	v_fmamk_f32 v99, v50, 0x3f763a35, v67
	v_mul_f32_e32 v69, 0xbf1a4643, v69
	v_add_f32_e32 v60, v60, v62
	v_fmamk_f32 v62, v54, 0xbf1a4643, v70
	v_mul_f32_e32 v72, 0xbf06c442, v72
	v_fmamk_f32 v59, v58, 0x3f6eb680, v85
	v_fmamk_f32 v61, v57, 0xbeb8f4ab, v80
	v_add_f32_e32 v92, v92, v99
	v_fmamk_f32 v99, v53, 0x3f4c4adb, v69
	v_mul_f32_e32 v71, 0xbf59a7d5, v71
	v_add_f32_e32 v62, v60, v62
	v_fmamk_f32 v101, v56, 0xbf59a7d5, v72
	v_add_f32_e32 v60, v77, v59
	v_add_f32_e32 v77, v92, v99
	v_fmamk_f32 v92, v55, 0x3f06c442, v71
	v_add_f32_e32 v59, v78, v61
	v_add_f32_e32 v61, v62, v101
	v_mul_f32_e32 v74, 0xbe3c28d5, v74
	v_fma_f32 v62, 0xbf7ba420, v46, -v83
	v_add_f32_e32 v77, v77, v92
	v_mul_f32_e32 v73, 0xbf7ba420, v73
	v_fma_f32 v92, 0x3f6eb680, v45, -v112
	v_fmamk_f32 v78, v58, 0xbf7ba420, v74
	v_add_f32_e32 v83, v1, v62
	v_add_f32_e32 v99, v0, v113
	v_fmac_f32_e32 v115, 0x3eb8f4ab, v44
	v_fmac_f32_e32 v18, 0xbf06c442, v47
	v_add_f32_e32 v62, v61, v78
	v_fmamk_f32 v61, v57, 0x3e3c28d5, v73
	v_add_f32_e32 v78, v83, v92
	v_fma_f32 v83, 0xbf59a7d5, v49, -v111
	v_add_f32_e32 v92, v99, v115
	v_fma_f32 v39, 0xbf59a7d5, v46, -v39
	v_add_f32_e32 v61, v77, v61
	v_fmac_f32_e32 v17, 0x3f2c7751, v48
	v_add_f32_e32 v77, v78, v83
	v_fma_f32 v78, 0x3f3d2fb0, v51, -v110
	v_add_f32_e32 v18, v92, v18
	v_add_f32_e32 v39, v1, v39
	v_fma_f32 v83, 0x3ee437d1, v45, -v118
	v_fmac_f32_e32 v19, 0xbf4c4adb, v50
	v_add_f32_e32 v77, v77, v78
	v_fma_f32 v78, 0xbf1a4643, v52, -v109
	v_add_f32_e32 v17, v18, v17
	v_add_f32_e32 v18, v39, v83
	v_fma_f32 v39, 0x3dbcf732, v49, -v40
	;; [unrolled: 6-line block ×3, first 2 shown]
	v_fma_f32 v16, 0xbe8c1d8e, v56, -v16
	v_add_f32_e32 v37, v40, v77
	v_add_f32_e32 v17, v17, v114
	v_fmac_f32_e32 v116, 0xbf763a35, v55
	v_add_f32_e32 v18, v18, v19
	v_fma_f32 v19, 0x3f6eb680, v52, -v119
	v_add_f32_e32 v16, v37, v16
	v_fma_f32 v37, 0x3dbcf732, v58, -v117
	v_add_f32_e32 v39, v17, v116
	v_fmac_f32_e32 v38, 0x3f7ee86f, v57
	v_add_f32_e32 v18, v18, v19
	v_fma_f32 v19, 0xbf7ba420, v54, -v130
	v_add_f32_e32 v17, v16, v37
	v_fmac_f32_e32 v36, 0xbf06c442, v43
	v_fma_f32 v37, 0xbf1a4643, v46, -v135
	v_add_f32_e32 v16, v39, v38
	v_add_f32_e32 v18, v18, v19
	v_fma_f32 v19, 0x3f3d2fb0, v56, -v41
	v_add_f32_e32 v36, v0, v36
	v_fmac_f32_e32 v24, 0x3f65296c, v44
	v_add_f32_e32 v37, v1, v37
	v_fma_f32 v38, 0xbe8c1d8e, v45, -v148
	v_fmac_f32_e32 v125, 0xbf4c4adb, v43
	v_add_f32_e32 v18, v18, v19
	v_add_f32_e32 v19, v36, v24
	v_fmac_f32_e32 v25, 0xbf7ee86f, v47
	v_add_f32_e32 v24, v37, v38
	v_fma_f32 v36, 0x3f6eb680, v49, -v142
	v_add_f32_e32 v37, v0, v125
	v_fmac_f32_e32 v126, 0x3f763a35, v44
	v_add_f32_e32 v19, v19, v25
	v_fmac_f32_e32 v26, 0x3f4c4adb, v48
	v_add_f32_e32 v24, v24, v36
	v_fma_f32 v25, 0xbf59a7d5, v51, -v143
	v_add_f32_e32 v36, v37, v126
	v_fmac_f32_e32 v127, 0xbeb8f4ab, v47
	;; [unrolled: 6-line block ×3, first 2 shown]
	v_add_f32_e32 v22, v19, v22
	v_fma_f32 v19, 0xbe8c1d8e, v58, -v27
	v_add_f32_e32 v24, v24, v25
	v_fmac_f32_e32 v21, 0xbe3c28d5, v53
	v_add_f32_e32 v25, v26, v123
	v_fma_f32 v26, 0x3f3d2fb0, v54, -v139
	v_fmac_f32_e32 v120, 0x3f7ee86f, v50
	v_add_f32_e32 v19, v18, v19
	v_add_f32_e32 v18, v22, v21
	v_fmac_f32_e32 v20, 0x3f2c7751, v55
	v_add_f32_e32 v21, v24, v26
	v_fma_f32 v22, 0xbf7ba420, v56, -v140
	v_add_f32_e32 v24, v25, v120
	v_fmac_f32_e32 v121, 0xbf2c7751, v53
	v_add_f32_e32 v18, v18, v20
	v_fmac_f32_e32 v35, 0xbe3c28d5, v55
	v_add_f32_e32 v20, v21, v22
	v_fma_f32 v21, 0x3ee437d1, v58, -v149
	v_add_f32_e32 v22, v24, v121
	v_fma_f32 v24, 0xbe8c1d8e, v46, -v146
	v_fmac_f32_e32 v147, 0xbf763a35, v43
	v_fmac_f32_e32 v132, 0x3f06c442, v44
	v_add_f32_e32 v21, v20, v21
	v_add_f32_e32 v20, v22, v35
	;; [unrolled: 1-line block ×3, first 2 shown]
	v_fma_f32 v24, 0xbf59a7d5, v45, -v128
	v_add_f32_e32 v25, v0, v147
	v_fma_f32 v26, 0x3f3d2fb0, v46, -v84
	v_fmac_f32_e32 v134, 0x3f2c7751, v47
	v_fma_f32 v27, 0x3dbcf732, v45, -v79
	v_add_f32_e32 v22, v22, v24
	v_fma_f32 v24, 0x3f3d2fb0, v49, -v122
	v_add_f32_e32 v25, v25, v132
	v_add_f32_e32 v26, v1, v26
	v_fmac_f32_e32 v136, 0xbf65296c, v48
	v_fmac_f32_e32 v137, 0xbe3c28d5, v50
	v_add_f32_e32 v22, v22, v24
	v_fma_f32 v24, 0x3ee437d1, v51, -v124
	v_add_f32_e32 v25, v25, v134
	v_add_f32_e32 v26, v26, v27
	v_fma_f32 v27, 0xbf1a4643, v49, -v87
	v_fmac_f32_e32 v138, 0x3f7ee86f, v53
	v_add_f32_e32 v22, v22, v24
	v_fma_f32 v24, 0xbf7ba420, v52, -v129
	v_add_f32_e32 v25, v25, v136
	v_add_f32_e32 v26, v26, v27
	v_fma_f32 v27, 0xbf7ba420, v51, -v88
	;; [unrolled: 6-line block ×5, first 2 shown]
	v_add_f32_e32 v20, v20, v23
	v_add_f32_e32 v23, v22, v24
	;; [unrolled: 1-line block ×3, first 2 shown]
	v_fmac_f32_e32 v86, 0xbf2c7751, v43
	v_fma_f32 v25, 0x3f6eb680, v46, -v63
	v_fmac_f32_e32 v90, 0xbeb8f4ab, v43
	v_add_f32_e32 v24, v26, v27
	v_fmac_f32_e32 v89, 0xbf7ee86f, v44
	v_add_f32_e32 v27, v0, v86
	v_add_f32_e32 v1, v1, v25
	v_fma_f32 v25, 0x3f3d2fb0, v45, -v98
	v_add_f32_e32 v0, v0, v90
	v_fmac_f32_e32 v100, 0xbf2c7751, v44
	v_add_f32_e32 v27, v27, v89
	v_fmac_f32_e32 v82, 0xbf4c4adb, v47
	v_add_f32_e32 v1, v1, v25
	v_fma_f32 v25, 0x3ee437d1, v49, -v64
	v_add_f32_e32 v0, v0, v100
	v_fmac_f32_e32 v102, 0xbf65296c, v47
	v_add_f32_e32 v27, v27, v82
	v_fmac_f32_e32 v91, 0xbe3c28d5, v48
	;; [unrolled: 6-line block ×4, first 2 shown]
	v_add_f32_e32 v1, v1, v25
	v_fma_f32 v25, 0xbf1a4643, v54, -v70
	v_add_f32_e32 v0, v0, v67
	v_fmac_f32_e32 v69, 0xbf4c4adb, v53
	v_fmac_f32_e32 v34, 0xbf763a35, v57
	v_add_f32_e32 v27, v27, v94
	v_fmac_f32_e32 v97, 0x3f65296c, v55
	v_add_f32_e32 v1, v1, v25
	v_fma_f32 v25, 0xbf59a7d5, v56, -v72
	v_add_f32_e32 v0, v0, v69
	v_fmac_f32_e32 v71, 0xbf06c442, v55
	v_fmamk_f32 v152, v58, 0xbf1a4643, v145
	v_add_f32_e32 v18, v18, v34
	v_fma_f32 v26, 0x3f6eb680, v58, -v85
	v_add_f32_e32 v27, v27, v97
	v_fmac_f32_e32 v80, 0x3eb8f4ab, v57
	v_add_f32_e32 v25, v1, v25
	v_fma_f32 v34, 0xbf7ba420, v58, -v74
	v_add_f32_e32 v35, v0, v71
	v_fmac_f32_e32 v73, 0xbe3c28d5, v57
	v_mad_u32_u24 v36, 0x88, v42, 0
	v_add_f32_e32 v13, v13, v152
	v_add_f32_e32 v1, v24, v26
	;; [unrolled: 1-line block ×5, first 2 shown]
	ds_write2_b64 v36, v[6:7], v[61:62] offset1:1
	ds_write2_b64 v36, v[59:60], v[75:76] offset0:2 offset1:3
	ds_write2_b64 v36, v[14:15], v[12:13] offset0:4 offset1:5
	;; [unrolled: 1-line block ×7, first 2 shown]
	ds_write_b64 v36, v[24:25] offset:128
.LBB0_13:
	s_or_b32 exec_lo, exec_lo, s1
	v_and_b32_e32 v0, 0xff, v42
	v_mov_b32_e32 v1, 12
	s_load_dwordx2 s[4:5], s[4:5], 0x0
	s_waitcnt lgkmcnt(0)
	s_barrier
	v_mul_lo_u16 v0, 0xf1, v0
	buffer_gl0_inv
	v_lshl_add_u32 v34, v42, 3, 0
	v_cmp_gt_u32_e64 s0, 17, v42
	v_lshrrev_b16 v8, 12, v0
	v_add_nc_u32_e32 v20, 0x800, v34
	v_mul_lo_u16 v0, v8, 17
	v_sub_nc_u16 v9, v42, v0
	v_mul_u32_u24_sdwa v0, v9, v1 dst_sel:DWORD dst_unused:UNUSED_PAD src0_sel:BYTE_0 src1_sel:DWORD
	v_lshlrev_b32_e32 v0, 3, v0
	s_clause 0x5
	global_load_dwordx4 v[15:18], v0, s[8:9]
	global_load_dwordx4 v[21:24], v0, s[8:9] offset:16
	global_load_dwordx4 v[35:38], v0, s[8:9] offset:32
	;; [unrolled: 1-line block ×5, first 2 shown]
	ds_read2_b64 v[4:7], v34 offset1:51
	ds_read2_b64 v[55:58], v34 offset0:102 offset1:153
	v_add_nc_u32_e32 v0, 0xc00, v34
	ds_read2_b64 v[59:62], v34 offset0:204 offset1:255
	ds_read2_b64 v[63:66], v20 offset0:50 offset1:101
	;; [unrolled: 1-line block ×4, first 2 shown]
	ds_read_b64 v[25:26], v34 offset:4896
	s_waitcnt vmcnt(0) lgkmcnt(0)
	s_barrier
	buffer_gl0_inv
	v_mul_f32_e32 v27, v16, v7
	v_mul_f32_e32 v39, v16, v6
	;; [unrolled: 1-line block ×20, first 2 shown]
	v_fma_f32 v27, v15, v6, -v27
	v_fmac_f32_e32 v39, v15, v7
	v_mul_f32_e32 v18, v22, v58
	v_mul_f32_e32 v41, v22, v57
	;; [unrolled: 1-line block ×4, first 2 shown]
	v_fma_f32 v54, v17, v55, -v16
	v_fmac_f32_e32 v40, v17, v56
	v_fma_f32 v6, v25, v53, -v52
	v_fmac_f32_e32 v13, v26, v53
	v_add_f32_e32 v25, v27, v4
	v_add_f32_e32 v26, v39, v5
	v_fma_f32 v55, v21, v57, -v18
	v_fmac_f32_e32 v41, v21, v58
	v_fma_f32 v24, v23, v59, -v75
	v_fmac_f32_e32 v22, v23, v60
	;; [unrolled: 2-line block ×5, first 2 shown]
	v_add_f32_e32 v35, v27, v6
	v_sub_f32_e32 v27, v27, v6
	v_sub_f32_e32 v37, v39, v13
	v_add_f32_e32 v25, v25, v54
	v_add_f32_e32 v26, v26, v40
	v_fma_f32 v18, v65, v43, -v38
	v_fmac_f32_e32 v1, v66, v43
	v_fma_f32 v17, v67, v45, -v44
	v_fmac_f32_e32 v14, v68, v45
	;; [unrolled: 2-line block ×4, first 2 shown]
	v_add_f32_e32 v36, v39, v13
	v_add_f32_e32 v38, v54, v7
	;; [unrolled: 1-line block ×3, first 2 shown]
	v_sub_f32_e32 v43, v54, v7
	v_sub_f32_e32 v44, v40, v12
	v_mul_f32_e32 v40, 0xbeedf032, v37
	v_mul_f32_e32 v54, 0xbeedf032, v27
	;; [unrolled: 1-line block ×12, first 2 shown]
	v_add_f32_e32 v25, v25, v55
	v_add_f32_e32 v26, v26, v41
	;; [unrolled: 1-line block ×4, first 2 shown]
	v_sub_f32_e32 v47, v55, v15
	v_sub_f32_e32 v48, v41, v11
	v_add_f32_e32 v49, v24, v16
	v_add_f32_e32 v50, v22, v10
	v_sub_f32_e32 v51, v24, v16
	v_sub_f32_e32 v52, v22, v10
	;; [unrolled: 1-line block ×4, first 2 shown]
	v_mul_f32_e32 v69, 0xbf52af12, v44
	v_mul_f32_e32 v70, 0xbf52af12, v43
	;; [unrolled: 1-line block ×12, first 2 shown]
	v_fma_f32 v41, 0x3f62ad3f, v35, -v40
	v_fmamk_f32 v55, v36, 0x3f62ad3f, v54
	v_fmac_f32_e32 v40, 0x3f62ad3f, v35
	v_fma_f32 v54, 0x3f62ad3f, v36, -v54
	v_fma_f32 v109, 0x3f116cb1, v35, -v61
	v_fmamk_f32 v110, v36, 0x3f116cb1, v62
	v_fmac_f32_e32 v61, 0x3f116cb1, v35
	v_fma_f32 v62, 0x3f116cb1, v36, -v62
	;; [unrolled: 4-line block ×6, first 2 shown]
	v_add_f32_e32 v24, v25, v24
	v_add_f32_e32 v22, v26, v22
	;; [unrolled: 1-line block ×4, first 2 shown]
	v_mul_f32_e32 v79, 0xbf7e222b, v48
	v_mul_f32_e32 v80, 0xbf7e222b, v47
	;; [unrolled: 1-line block ×36, first 2 shown]
	v_fma_f32 v35, 0x3f116cb1, v38, -v69
	v_fmac_f32_e32 v69, 0x3f116cb1, v38
	v_fma_f32 v119, 0xbeb58ec6, v38, -v71
	v_fmac_f32_e32 v71, 0xbeb58ec6, v38
	;; [unrolled: 2-line block ×6, first 2 shown]
	v_fma_f32 v38, 0x3f62ad3f, v39, -v43
	v_add_f32_e32 v26, v41, v4
	v_add_f32_e32 v41, v55, v5
	;; [unrolled: 1-line block ×27, first 2 shown]
	v_fmamk_f32 v36, v39, 0x3f116cb1, v70
	v_fma_f32 v70, 0x3f116cb1, v39, -v70
	v_fmamk_f32 v120, v39, 0xbeb58ec6, v72
	v_fma_f32 v72, 0xbeb58ec6, v39, -v72
	;; [unrolled: 2-line block ×6, first 2 shown]
	v_fmamk_f32 v43, v46, 0x3df6dbef, v80
	v_fmac_f32_e32 v79, 0x3df6dbef, v45
	v_fma_f32 v80, 0x3df6dbef, v46, -v80
	v_fma_f32 v129, 0xbf788fa5, v45, -v81
	v_fmamk_f32 v130, v46, 0xbf788fa5, v82
	v_fmac_f32_e32 v81, 0xbf788fa5, v45
	v_fma_f32 v82, 0xbf788fa5, v46, -v82
	v_fma_f32 v131, 0xbeb58ec6, v45, -v83
	;; [unrolled: 4-line block ×17, first 2 shown]
	v_fmac_f32_e32 v58, 0xbeb58ec6, v53
	v_fmamk_f32 v53, v56, 0xbeb58ec6, v57
	v_fma_f32 v56, 0xbeb58ec6, v56, -v57
	v_sub_f32_e32 v57, v21, v18
	v_add_f32_e32 v4, v44, v4
	v_add_f32_e32 v5, v38, v5
	;; [unrolled: 1-line block ×42, first 2 shown]
	v_sub_f32_e32 v60, v0, v1
	v_add_f32_e32 v21, v46, v22
	v_add_f32_e32 v22, v47, v23
	;; [unrolled: 1-line block ×17, first 2 shown]
	v_mul_f32_e32 v25, 0xbe750f2a, v60
	v_add_f32_e32 v17, v51, v22
	v_add_f32_e32 v22, v150, v27
	;; [unrolled: 1-line block ×8, first 2 shown]
	v_mul_f32_e32 v0, 0xbe750f2a, v57
	v_add_f32_e32 v64, v75, v65
	v_add_f32_e32 v65, v76, v66
	;; [unrolled: 1-line block ×6, first 2 shown]
	v_fma_f32 v1, 0xbf788fa5, v59, -v25
	v_fmamk_f32 v7, v47, 0xbf788fa5, v0
	v_mul_f32_e32 v12, 0x3eedf032, v60
	v_mul_f32_e32 v11, 0x3eedf032, v57
	;; [unrolled: 1-line block ×3, first 2 shown]
	v_add_f32_e32 v54, v85, v64
	v_add_f32_e32 v55, v86, v65
	;; [unrolled: 1-line block ×11, first 2 shown]
	v_fma_f32 v10, 0x3f62ad3f, v59, -v12
	v_fmamk_f32 v13, v47, 0x3f62ad3f, v11
	v_fma_f32 v14, 0x3f62ad3f, v47, -v11
	v_fma_f32 v15, 0xbf3f9e67, v59, -v16
	v_mul_f32_e32 v17, 0xbf29c268, v57
	v_add_f32_e32 v44, v95, v54
	v_add_f32_e32 v45, v96, v55
	;; [unrolled: 1-line block ×4, first 2 shown]
	v_fmac_f32_e32 v25, 0xbf788fa5, v59
	v_add_f32_e32 v10, v10, v21
	v_add_f32_e32 v11, v13, v22
	;; [unrolled: 1-line block ×4, first 2 shown]
	v_mul_f32_e32 v21, 0x3f52af12, v60
	v_fmamk_f32 v15, v47, 0xbf3f9e67, v17
	v_mul_f32_e32 v24, 0xbf6f5d39, v57
	v_add_f32_e32 v66, v125, v114
	v_add_f32_e32 v67, v77, v67
	;; [unrolled: 1-line block ×8, first 2 shown]
	v_fma_f32 v1, 0xbf788fa5, v47, -v0
	v_add_f32_e32 v0, v25, v18
	v_fma_f32 v18, 0x3f116cb1, v59, -v21
	v_add_f32_e32 v15, v15, v27
	v_fmamk_f32 v26, v47, 0xbeb58ec6, v24
	v_fma_f32 v27, 0xbeb58ec6, v47, -v24
	v_add_f32_e32 v61, v135, v66
	v_add_f32_e32 v63, v87, v67
	;; [unrolled: 1-line block ×6, first 2 shown]
	v_fmac_f32_e32 v16, 0xbf3f9e67, v59
	v_fma_f32 v17, 0xbf3f9e67, v47, -v17
	v_mul_f32_e32 v22, 0x3f52af12, v57
	v_add_f32_e32 v18, v18, v37
	v_add_f32_e32 v24, v26, v43
	;; [unrolled: 1-line block ×3, first 2 shown]
	v_mov_b32_e32 v27, 0x6e8
	v_mov_b32_e32 v37, 3
	v_add_f32_e32 v46, v145, v61
	v_fmac_f32_e32 v12, 0x3f62ad3f, v59
	v_mul_f32_e32 v25, 0xbf6f5d39, v60
	v_add_f32_e32 v48, v97, v63
	v_add_f32_e32 v55, v147, v65
	;; [unrolled: 1-line block ×7, first 2 shown]
	v_fmamk_f32 v19, v47, 0x3f116cb1, v22
	v_fmac_f32_e32 v21, 0x3f116cb1, v59
	v_mul_f32_e32 v35, 0x3f7e222b, v60
	v_mul_f32_e32 v36, 0x3f7e222b, v57
	v_mul_u32_u24_sdwa v27, v8, v27 dst_sel:DWORD dst_unused:UNUSED_PAD src0_sel:WORD_0 src1_sel:DWORD
	v_lshlrev_b32_sdwa v37, v37, v9 dst_sel:DWORD dst_unused:UNUSED_PAD src0_sel:DWORD src1_sel:BYTE_0
	v_add_f32_e32 v41, v155, v46
	v_add_f32_e32 v12, v12, v23
	v_fma_f32 v23, 0xbeb58ec6, v59, -v25
	v_add_f32_e32 v44, v107, v48
	v_add_f32_e32 v46, v157, v55
	;; [unrolled: 1-line block ×7, first 2 shown]
	v_fma_f32 v38, 0x3df6dbef, v59, -v35
	v_fmamk_f32 v39, v47, 0x3df6dbef, v36
	v_fmac_f32_e32 v35, 0x3df6dbef, v59
	v_fma_f32 v36, 0x3df6dbef, v47, -v36
	v_fma_f32 v22, 0x3f116cb1, v47, -v22
	v_fmac_f32_e32 v25, 0xbeb58ec6, v59
	v_add3_u32 v27, 0, v27, v37
	v_add_f32_e32 v23, v23, v41
	v_add_f32_e32 v8, v38, v46
	;; [unrolled: 1-line block ×7, first 2 shown]
	ds_write2_b64 v27, v[4:5], v[6:7] offset1:17
	ds_write2_b64 v27, v[10:11], v[14:15] offset0:34 offset1:51
	ds_write2_b64 v27, v[18:19], v[23:24] offset0:68 offset1:85
	;; [unrolled: 1-line block ×5, first 2 shown]
	ds_write_b64 v27, v[0:1] offset:1632
	v_add_nc_u32_e32 v8, 0x400, v34
	v_add_nc_u32_e32 v24, 0x1000, v34
	s_waitcnt lgkmcnt(0)
	s_barrier
	buffer_gl0_inv
	ds_read2_b64 v[4:7], v34 offset1:51
	ds_read2_b64 v[8:11], v8 offset0:93 offset1:144
	ds_read2_b64 v[12:15], v20 offset0:186 offset1:237
	;; [unrolled: 1-line block ×5, first 2 shown]
	s_and_saveexec_b32 s1, s0
	s_cbranch_execz .LBB0_15
; %bb.14:
	v_add_nc_u32_e32 v0, 0x600, v34
	ds_read2_b64 v[0:3], v0 offset0:12 offset1:233
	ds_read_b64 v[32:33], v34 offset:5168
.LBB0_15:
	s_or_b32 exec_lo, exec_lo, s1
	s_and_saveexec_b32 s1, vcc_lo
	s_cbranch_execz .LBB0_18
; %bb.16:
	v_add_nc_u32_e32 v72, 0x99, v42
	v_mov_b32_e32 v35, 0
	v_add_nc_u32_e32 v73, 0x66, v42
	v_add_nc_u32_e32 v69, 51, v42
	;; [unrolled: 1-line block ×3, first 2 shown]
	v_lshlrev_b32_e32 v34, 1, v72
	v_add_nc_u32_e32 v68, 0x1ba, v42
	v_add_nc_u32_e32 v70, 0x110, v42
	;; [unrolled: 1-line block ×3, first 2 shown]
	v_mul_lo_u32 v65, s5, v30
	v_lshlrev_b64 v[36:37], 3, v[34:35]
	v_lshlrev_b32_e32 v34, 1, v73
	v_mul_lo_u32 v66, s4, v31
	v_mad_u64_u32 v[30:31], null, s4, v30, 0
	v_mad_u64_u32 v[55:56], null, s2, v67, 0
	v_lshlrev_b64 v[40:41], 3, v[34:35]
	v_add_co_u32 v36, vcc_lo, s8, v36
	v_add_co_ci_u32_e32 v37, vcc_lo, s9, v37, vcc_lo
	v_lshlrev_b32_e32 v34, 1, v69
	v_add_co_u32 v40, vcc_lo, s8, v40
	v_add_co_ci_u32_e32 v41, vcc_lo, s9, v41, vcc_lo
	global_load_dwordx4 v[36:39], v[36:37], off offset:1632
	v_mad_u64_u32 v[57:58], null, s2, v68, 0
	global_load_dwordx4 v[43:46], v[40:41], off offset:1632
	v_lshlrev_b64 v[40:41], 3, v[34:35]
	v_lshlrev_b32_e32 v34, 1, v42
	v_mad_u64_u32 v[61:62], null, s2, v70, 0
	v_mul_hi_u32 v74, 0x288b0129, v73
	v_mad_u64_u32 v[59:60], null, s2, v69, 0
	v_add_co_u32 v40, vcc_lo, s8, v40
	v_add_co_ci_u32_e32 v41, vcc_lo, s9, v41, vcc_lo
	v_mad_u64_u32 v[63:64], null, s2, v71, 0
	v_mul_hi_u32 v75, 0x288b0129, v72
	global_load_dwordx4 v[47:50], v[40:41], off offset:1632
	v_lshlrev_b64 v[40:41], 3, v[34:35]
	v_add3_u32 v31, v31, v66, v65
	v_lshlrev_b64 v[28:29], 3, v[28:29]
	v_add_co_u32 v40, vcc_lo, s8, v40
	v_add_co_ci_u32_e32 v41, vcc_lo, s9, v41, vcc_lo
	v_lshlrev_b64 v[30:31], 3, v[30:31]
	global_load_dwordx4 v[51:54], v[40:41], off offset:1632
	v_mad_u64_u32 v[40:41], null, s2, v42, 0
	v_add_co_u32 v30, vcc_lo, s14, v30
	v_add_co_ci_u32_e32 v31, vcc_lo, s15, v31, vcc_lo
	v_add_co_u32 v28, vcc_lo, v30, v28
	v_mov_b32_e32 v34, v41
	v_mov_b32_e32 v41, v58
	;; [unrolled: 1-line block ×3, first 2 shown]
	v_sub_nc_u32_e32 v62, v73, v74
	v_add_co_ci_u32_e32 v29, vcc_lo, v31, v29, vcc_lo
	v_mad_u64_u32 v[65:66], null, s3, v42, v[34:35]
	v_mov_b32_e32 v34, v56
	v_mov_b32_e32 v56, v60
	;; [unrolled: 1-line block ×3, first 2 shown]
	v_sub_nc_u32_e32 v64, v72, v75
	v_mad_u64_u32 v[66:67], null, s3, v67, v[34:35]
	v_lshrrev_b32_e32 v34, 1, v62
	v_mad_u64_u32 v[67:68], null, s3, v68, v[41:42]
	v_mad_u64_u32 v[68:69], null, s3, v69, v[56:57]
	v_lshrrev_b32_e32 v56, 1, v64
	v_add_nc_u32_e32 v34, v34, v74
	v_mad_u64_u32 v[69:70], null, s3, v70, v[58:59]
	v_mad_u64_u32 v[70:71], null, s3, v71, v[60:61]
	v_mov_b32_e32 v41, v65
	v_add_nc_u32_e32 v65, v56, v75
	v_lshrrev_b32_e32 v34, 7, v34
	v_mov_b32_e32 v56, v66
	v_mov_b32_e32 v58, v67
	;; [unrolled: 1-line block ×3, first 2 shown]
	v_lshrrev_b32_e32 v65, 7, v65
	v_mov_b32_e32 v62, v69
	v_mov_b32_e32 v64, v70
	v_mad_u32_u24 v75, 0x1ba, v34, v73
	v_lshlrev_b64 v[30:31], 3, v[40:41]
	v_mad_u32_u24 v77, 0x1ba, v65, v72
	v_lshlrev_b64 v[40:41], 3, v[55:56]
	v_lshlrev_b64 v[55:56], 3, v[57:58]
	;; [unrolled: 1-line block ×5, first 2 shown]
	v_mad_u64_u32 v[63:64], null, s2, v75, 0
	v_add_nc_u32_e32 v78, 0xdd, v75
	v_add_nc_u32_e32 v79, 0x1ba, v75
	v_mad_u64_u32 v[65:66], null, s2, v77, 0
	v_add_nc_u32_e32 v80, 0xdd, v77
	v_mad_u64_u32 v[67:68], null, s2, v78, 0
	v_mad_u64_u32 v[69:70], null, s2, v79, 0
	;; [unrolled: 1-line block ×3, first 2 shown]
	v_mov_b32_e32 v34, v64
	v_mov_b32_e32 v64, v66
	v_add_nc_u32_e32 v81, 0x1ba, v77
	v_add_co_u32 v30, vcc_lo, v28, v30
	v_mad_u64_u32 v[75:76], null, s3, v75, v[34:35]
	v_mov_b32_e32 v34, v68
	v_mov_b32_e32 v66, v70
	v_mad_u64_u32 v[76:77], null, s3, v77, v[64:65]
	v_mov_b32_e32 v64, v72
	v_mad_u64_u32 v[77:78], null, s3, v78, v[34:35]
	v_mad_u64_u32 v[78:79], null, s3, v79, v[66:67]
	;; [unrolled: 1-line block ×3, first 2 shown]
	v_mov_b32_e32 v64, v75
	v_mad_u64_u32 v[73:74], null, s2, v81, 0
	v_add_co_ci_u32_e32 v31, vcc_lo, v29, v31, vcc_lo
	v_add_co_u32 v40, vcc_lo, v28, v40
	v_add_co_ci_u32_e32 v41, vcc_lo, v29, v41, vcc_lo
	v_add_co_u32 v55, vcc_lo, v28, v55
	v_add_co_ci_u32_e32 v56, vcc_lo, v29, v56, vcc_lo
	v_mov_b32_e32 v68, v74
	v_add_co_u32 v57, vcc_lo, v28, v57
	v_mov_b32_e32 v66, v76
	v_add_co_ci_u32_e32 v58, vcc_lo, v29, v58, vcc_lo
	v_add_co_u32 v59, vcc_lo, v28, v59
	v_lshlrev_b64 v[63:64], 3, v[63:64]
	v_mad_u64_u32 v[80:81], null, s3, v81, v[68:69]
	v_mov_b32_e32 v68, v77
	v_add_co_ci_u32_e32 v60, vcc_lo, v29, v60, vcc_lo
	v_add_co_u32 v61, vcc_lo, v28, v61
	v_lshlrev_b64 v[65:66], 3, v[65:66]
	v_mov_b32_e32 v70, v78
	v_add_co_ci_u32_e32 v62, vcc_lo, v29, v62, vcc_lo
	v_lshlrev_b64 v[67:68], 3, v[67:68]
	v_add_co_u32 v63, vcc_lo, v28, v63
	v_mov_b32_e32 v72, v79
	v_add_co_ci_u32_e32 v64, vcc_lo, v29, v64, vcc_lo
	v_lshlrev_b64 v[69:70], 3, v[69:70]
	v_add_co_u32 v65, vcc_lo, v28, v65
	;; [unrolled: 4-line block ×3, first 2 shown]
	v_add_co_ci_u32_e32 v68, vcc_lo, v29, v68, vcc_lo
	v_lshlrev_b64 v[73:74], 3, v[73:74]
	v_add_co_u32 v69, vcc_lo, v28, v69
	v_add_co_ci_u32_e32 v70, vcc_lo, v29, v70, vcc_lo
	v_add_co_u32 v71, vcc_lo, v28, v71
	v_add_co_ci_u32_e32 v72, vcc_lo, v29, v72, vcc_lo
	;; [unrolled: 2-line block ×3, first 2 shown]
	s_waitcnt vmcnt(3) lgkmcnt(1)
	v_mul_f32_e32 v34, v37, v23
	s_waitcnt lgkmcnt(0)
	v_mul_f32_e32 v75, v27, v39
	v_mul_f32_e32 v37, v37, v22
	;; [unrolled: 1-line block ×3, first 2 shown]
	v_fma_f32 v22, v36, v22, -v34
	v_fma_f32 v26, v26, v38, -v75
	v_fmac_f32_e32 v37, v36, v23
	v_fmac_f32_e32 v39, v27, v38
	s_waitcnt vmcnt(2)
	v_mul_f32_e32 v23, v44, v21
	v_mul_f32_e32 v27, v46, v25
	;; [unrolled: 1-line block ×4, first 2 shown]
	v_sub_f32_e32 v38, v22, v26
	v_add_f32_e32 v44, v37, v39
	v_add_f32_e32 v46, v19, v37
	;; [unrolled: 1-line block ×4, first 2 shown]
	v_fma_f32 v23, v43, v20, -v23
	v_fma_f32 v24, v45, v24, -v27
	v_fmac_f32_e32 v34, v43, v21
	v_fmac_f32_e32 v36, v45, v25
	s_waitcnt vmcnt(1)
	v_mul_f32_e32 v25, v48, v11
	v_mul_f32_e32 v27, v50, v15
	;; [unrolled: 1-line block ×4, first 2 shown]
	v_sub_f32_e32 v37, v37, v39
	v_fma_f32 v19, -0.5, v44, v19
	v_add_f32_e32 v21, v46, v39
	v_fma_f32 v18, -0.5, v75, v18
	v_add_f32_e32 v20, v22, v26
	v_sub_f32_e32 v22, v23, v24
	v_add_f32_e32 v39, v23, v24
	v_add_f32_e32 v23, v16, v23
	v_fma_f32 v25, v47, v10, -v25
	v_fma_f32 v27, v49, v14, -v27
	v_fmac_f32_e32 v43, v47, v11
	v_fmac_f32_e32 v45, v49, v15
	s_waitcnt vmcnt(0)
	v_mul_f32_e32 v46, v52, v9
	v_mul_f32_e32 v47, v54, v13
	;; [unrolled: 1-line block ×4, first 2 shown]
	v_add_f32_e32 v26, v34, v36
	v_sub_f32_e32 v44, v34, v36
	v_add_f32_e32 v34, v17, v34
	v_fmamk_f32 v11, v38, 0x3f5db3d7, v19
	v_fmac_f32_e32 v19, 0xbf5db3d7, v38
	v_fmamk_f32 v10, v37, 0xbf5db3d7, v18
	v_fmac_f32_e32 v18, 0x3f5db3d7, v37
	v_fma_f32 v14, -0.5, v39, v16
	v_add_f32_e32 v16, v23, v24
	v_add_f32_e32 v23, v43, v45
	v_add_f32_e32 v24, v25, v27
	v_fma_f32 v37, v51, v8, -v46
	v_fma_f32 v38, v53, v12, -v47
	v_fmac_f32_e32 v48, v51, v9
	v_fmac_f32_e32 v49, v53, v13
	v_fma_f32 v15, -0.5, v26, v17
	v_add_f32_e32 v17, v34, v36
	v_sub_f32_e32 v34, v25, v27
	v_add_f32_e32 v26, v7, v43
	v_add_f32_e32 v25, v6, v25
	v_fma_f32 v7, -0.5, v23, v7
	v_fma_f32 v6, -0.5, v24, v6
	v_add_f32_e32 v23, v48, v49
	v_add_f32_e32 v24, v37, v38
	;; [unrolled: 1-line block ×6, first 2 shown]
	v_fmamk_f32 v9, v22, 0x3f5db3d7, v15
	v_fmac_f32_e32 v15, 0xbf5db3d7, v22
	v_sub_f32_e32 v22, v37, v38
	v_sub_f32_e32 v39, v48, v49
	v_fma_f32 v5, -0.5, v23, v5
	v_fma_f32 v4, -0.5, v24, v4
	v_sub_f32_e32 v36, v43, v45
	v_add_f32_e32 v25, v25, v49
	v_add_f32_e32 v24, v26, v38
	v_fmamk_f32 v27, v22, 0x3f5db3d7, v5
	v_fmamk_f32 v26, v39, 0xbf5db3d7, v4
	v_fmac_f32_e32 v5, 0xbf5db3d7, v22
	v_fmac_f32_e32 v4, 0x3f5db3d7, v39
	v_fmamk_f32 v23, v34, 0x3f5db3d7, v7
	v_fmamk_f32 v22, v36, 0xbf5db3d7, v6
	v_fmac_f32_e32 v7, 0xbf5db3d7, v34
	v_fmac_f32_e32 v6, 0x3f5db3d7, v36
	v_fmamk_f32 v8, v44, 0xbf5db3d7, v14
	v_fmac_f32_e32 v14, 0x3f5db3d7, v44
	global_store_dwordx2 v[30:31], v[24:25], off
	global_store_dwordx2 v[40:41], v[4:5], off
	;; [unrolled: 1-line block ×12, first 2 shown]
	s_and_b32 exec_lo, exec_lo, s0
	s_cbranch_execz .LBB0_18
; %bb.17:
	v_add_nc_u32_e32 v14, 0xcc, v42
	v_subrev_nc_u32_e32 v4, 17, v42
	v_add_nc_u32_e32 v16, 0x1a9, v42
	v_add_nc_u32_e32 v17, 0x286, v42
	v_mad_u64_u32 v[8:9], null, s2, v14, 0
	v_cndmask_b32_e64 v4, v4, v14, s0
	v_mad_u64_u32 v[10:11], null, s2, v16, 0
	v_mad_u64_u32 v[12:13], null, s2, v17, 0
	v_lshlrev_b32_e32 v34, 1, v4
	v_mad_u64_u32 v[14:15], null, s3, v14, v[9:10]
	v_lshlrev_b64 v[4:5], 3, v[34:35]
	v_mad_u64_u32 v[15:16], null, s3, v16, v[11:12]
	v_add_co_u32 v4, vcc_lo, s8, v4
	v_add_co_ci_u32_e32 v5, vcc_lo, s9, v5, vcc_lo
	v_mad_u64_u32 v[16:17], null, s3, v17, v[13:14]
	v_mov_b32_e32 v9, v14
	global_load_dwordx4 v[4:7], v[4:5], off offset:1632
	v_mov_b32_e32 v11, v15
	v_lshlrev_b64 v[8:9], 3, v[8:9]
	v_mov_b32_e32 v13, v16
	v_lshlrev_b64 v[10:11], 3, v[10:11]
	v_lshlrev_b64 v[12:13], 3, v[12:13]
	v_add_co_u32 v8, vcc_lo, v28, v8
	v_add_co_ci_u32_e32 v9, vcc_lo, v29, v9, vcc_lo
	v_add_co_u32 v10, vcc_lo, v28, v10
	v_add_co_ci_u32_e32 v11, vcc_lo, v29, v11, vcc_lo
	s_waitcnt vmcnt(0)
	v_mul_f32_e32 v14, v3, v5
	v_mul_f32_e32 v5, v2, v5
	;; [unrolled: 1-line block ×4, first 2 shown]
	v_fma_f32 v14, v2, v4, -v14
	v_fmac_f32_e32 v5, v3, v4
	v_fma_f32 v4, v32, v6, -v15
	v_fmac_f32_e32 v7, v33, v6
	v_add_co_u32 v2, vcc_lo, v28, v12
	v_add_co_ci_u32_e32 v3, vcc_lo, v29, v13, vcc_lo
	v_add_f32_e32 v6, v14, v4
	v_add_f32_e32 v13, v5, v7
	;; [unrolled: 1-line block ×3, first 2 shown]
	v_sub_f32_e32 v15, v5, v7
	v_add_f32_e32 v5, v1, v5
	v_fmac_f32_e32 v0, -0.5, v6
	v_sub_f32_e32 v14, v14, v4
	v_fmac_f32_e32 v1, -0.5, v13
	v_add_f32_e32 v4, v12, v4
	v_add_f32_e32 v5, v5, v7
	v_fmamk_f32 v6, v15, 0x3f5db3d7, v0
	v_fmac_f32_e32 v0, 0xbf5db3d7, v15
	v_fmamk_f32 v7, v14, 0xbf5db3d7, v1
	v_fmac_f32_e32 v1, 0x3f5db3d7, v14
	global_store_dwordx2 v[8:9], v[4:5], off
	global_store_dwordx2 v[10:11], v[6:7], off
	;; [unrolled: 1-line block ×3, first 2 shown]
.LBB0_18:
	s_endpgm
	.section	.rodata,"a",@progbits
	.p2align	6, 0x0
	.amdhsa_kernel fft_rtc_fwd_len663_factors_17_13_3_wgs_51_tpt_51_sp_op_CI_CI_sbrr_dirReg
		.amdhsa_group_segment_fixed_size 0
		.amdhsa_private_segment_fixed_size 0
		.amdhsa_kernarg_size 104
		.amdhsa_user_sgpr_count 6
		.amdhsa_user_sgpr_private_segment_buffer 1
		.amdhsa_user_sgpr_dispatch_ptr 0
		.amdhsa_user_sgpr_queue_ptr 0
		.amdhsa_user_sgpr_kernarg_segment_ptr 1
		.amdhsa_user_sgpr_dispatch_id 0
		.amdhsa_user_sgpr_flat_scratch_init 0
		.amdhsa_user_sgpr_private_segment_size 0
		.amdhsa_wavefront_size32 1
		.amdhsa_uses_dynamic_stack 0
		.amdhsa_system_sgpr_private_segment_wavefront_offset 0
		.amdhsa_system_sgpr_workgroup_id_x 1
		.amdhsa_system_sgpr_workgroup_id_y 0
		.amdhsa_system_sgpr_workgroup_id_z 0
		.amdhsa_system_sgpr_workgroup_info 0
		.amdhsa_system_vgpr_workitem_id 0
		.amdhsa_next_free_vgpr 158
		.amdhsa_next_free_sgpr 31
		.amdhsa_reserve_vcc 1
		.amdhsa_reserve_flat_scratch 0
		.amdhsa_float_round_mode_32 0
		.amdhsa_float_round_mode_16_64 0
		.amdhsa_float_denorm_mode_32 3
		.amdhsa_float_denorm_mode_16_64 3
		.amdhsa_dx10_clamp 1
		.amdhsa_ieee_mode 1
		.amdhsa_fp16_overflow 0
		.amdhsa_workgroup_processor_mode 1
		.amdhsa_memory_ordered 1
		.amdhsa_forward_progress 0
		.amdhsa_shared_vgpr_count 0
		.amdhsa_exception_fp_ieee_invalid_op 0
		.amdhsa_exception_fp_denorm_src 0
		.amdhsa_exception_fp_ieee_div_zero 0
		.amdhsa_exception_fp_ieee_overflow 0
		.amdhsa_exception_fp_ieee_underflow 0
		.amdhsa_exception_fp_ieee_inexact 0
		.amdhsa_exception_int_div_zero 0
	.end_amdhsa_kernel
	.text
.Lfunc_end0:
	.size	fft_rtc_fwd_len663_factors_17_13_3_wgs_51_tpt_51_sp_op_CI_CI_sbrr_dirReg, .Lfunc_end0-fft_rtc_fwd_len663_factors_17_13_3_wgs_51_tpt_51_sp_op_CI_CI_sbrr_dirReg
                                        ; -- End function
	.section	.AMDGPU.csdata,"",@progbits
; Kernel info:
; codeLenInByte = 12540
; NumSgprs: 33
; NumVgprs: 158
; ScratchSize: 0
; MemoryBound: 0
; FloatMode: 240
; IeeeMode: 1
; LDSByteSize: 0 bytes/workgroup (compile time only)
; SGPRBlocks: 4
; VGPRBlocks: 19
; NumSGPRsForWavesPerEU: 33
; NumVGPRsForWavesPerEU: 158
; Occupancy: 6
; WaveLimiterHint : 1
; COMPUTE_PGM_RSRC2:SCRATCH_EN: 0
; COMPUTE_PGM_RSRC2:USER_SGPR: 6
; COMPUTE_PGM_RSRC2:TRAP_HANDLER: 0
; COMPUTE_PGM_RSRC2:TGID_X_EN: 1
; COMPUTE_PGM_RSRC2:TGID_Y_EN: 0
; COMPUTE_PGM_RSRC2:TGID_Z_EN: 0
; COMPUTE_PGM_RSRC2:TIDIG_COMP_CNT: 0
	.text
	.p2alignl 6, 3214868480
	.fill 48, 4, 3214868480
	.type	__hip_cuid_193c6f04f399bc45,@object ; @__hip_cuid_193c6f04f399bc45
	.section	.bss,"aw",@nobits
	.globl	__hip_cuid_193c6f04f399bc45
__hip_cuid_193c6f04f399bc45:
	.byte	0                               ; 0x0
	.size	__hip_cuid_193c6f04f399bc45, 1

	.ident	"AMD clang version 19.0.0git (https://github.com/RadeonOpenCompute/llvm-project roc-6.4.0 25133 c7fe45cf4b819c5991fe208aaa96edf142730f1d)"
	.section	".note.GNU-stack","",@progbits
	.addrsig
	.addrsig_sym __hip_cuid_193c6f04f399bc45
	.amdgpu_metadata
---
amdhsa.kernels:
  - .args:
      - .actual_access:  read_only
        .address_space:  global
        .offset:         0
        .size:           8
        .value_kind:     global_buffer
      - .offset:         8
        .size:           8
        .value_kind:     by_value
      - .actual_access:  read_only
        .address_space:  global
        .offset:         16
        .size:           8
        .value_kind:     global_buffer
      - .actual_access:  read_only
        .address_space:  global
        .offset:         24
        .size:           8
        .value_kind:     global_buffer
      - .actual_access:  read_only
        .address_space:  global
        .offset:         32
        .size:           8
        .value_kind:     global_buffer
      - .offset:         40
        .size:           8
        .value_kind:     by_value
      - .actual_access:  read_only
        .address_space:  global
        .offset:         48
        .size:           8
        .value_kind:     global_buffer
      - .actual_access:  read_only
        .address_space:  global
        .offset:         56
        .size:           8
        .value_kind:     global_buffer
      - .offset:         64
        .size:           4
        .value_kind:     by_value
      - .actual_access:  read_only
        .address_space:  global
        .offset:         72
        .size:           8
        .value_kind:     global_buffer
      - .actual_access:  read_only
        .address_space:  global
        .offset:         80
        .size:           8
        .value_kind:     global_buffer
      - .actual_access:  read_only
        .address_space:  global
        .offset:         88
        .size:           8
        .value_kind:     global_buffer
      - .actual_access:  write_only
        .address_space:  global
        .offset:         96
        .size:           8
        .value_kind:     global_buffer
    .group_segment_fixed_size: 0
    .kernarg_segment_align: 8
    .kernarg_segment_size: 104
    .language:       OpenCL C
    .language_version:
      - 2
      - 0
    .max_flat_workgroup_size: 51
    .name:           fft_rtc_fwd_len663_factors_17_13_3_wgs_51_tpt_51_sp_op_CI_CI_sbrr_dirReg
    .private_segment_fixed_size: 0
    .sgpr_count:     33
    .sgpr_spill_count: 0
    .symbol:         fft_rtc_fwd_len663_factors_17_13_3_wgs_51_tpt_51_sp_op_CI_CI_sbrr_dirReg.kd
    .uniform_work_group_size: 1
    .uses_dynamic_stack: false
    .vgpr_count:     158
    .vgpr_spill_count: 0
    .wavefront_size: 32
    .workgroup_processor_mode: 1
amdhsa.target:   amdgcn-amd-amdhsa--gfx1030
amdhsa.version:
  - 1
  - 2
...

	.end_amdgpu_metadata
